;; amdgpu-corpus repo=ROCm/rocSOLVER kind=compiled arch=gfx1250 opt=O3
	.amdgcn_target "amdgcn-amd-amdhsa--gfx1250"
	.amdhsa_code_object_version 6
	.section	.text._ZN9rocsolver6v33100L18getf2_panel_kernelI19rocblas_complex_numIdEiiPS3_EEvT0_S5_T2_lS5_lPS5_llPT1_S5_S5_S7_l,"axG",@progbits,_ZN9rocsolver6v33100L18getf2_panel_kernelI19rocblas_complex_numIdEiiPS3_EEvT0_S5_T2_lS5_lPS5_llPT1_S5_S5_S7_l,comdat
	.globl	_ZN9rocsolver6v33100L18getf2_panel_kernelI19rocblas_complex_numIdEiiPS3_EEvT0_S5_T2_lS5_lPS5_llPT1_S5_S5_S7_l ; -- Begin function _ZN9rocsolver6v33100L18getf2_panel_kernelI19rocblas_complex_numIdEiiPS3_EEvT0_S5_T2_lS5_lPS5_llPT1_S5_S5_S7_l
	.p2align	8
	.type	_ZN9rocsolver6v33100L18getf2_panel_kernelI19rocblas_complex_numIdEiiPS3_EEvT0_S5_T2_lS5_lPS5_llPT1_S5_S5_S7_l,@function
_ZN9rocsolver6v33100L18getf2_panel_kernelI19rocblas_complex_numIdEiiPS3_EEvT0_S5_T2_lS5_lPS5_llPT1_S5_S5_S7_l: ; @_ZN9rocsolver6v33100L18getf2_panel_kernelI19rocblas_complex_numIdEiiPS3_EEvT0_S5_T2_lS5_lPS5_llPT1_S5_S5_S7_l
; %bb.0:
	s_clause 0x1
	s_load_b128 s[4:7], s[0:1], 0x50
	s_load_b32 s3, s[0:1], 0x6c
	s_bfe_u32 s2, ttmp6, 0x40014
	s_lshr_b32 s8, ttmp7, 16
	s_add_co_i32 s2, s2, 1
	s_bfe_u32 s9, ttmp6, 0x40008
	s_mul_i32 s2, s8, s2
	s_getreg_b32 s10, hwreg(HW_REG_IB_STS2, 6, 4)
	s_add_co_i32 s9, s9, s2
	s_cmp_eq_u32 s10, 0
	s_mov_b32 s13, 0
	s_cselect_b32 s12, s8, s9
	s_mov_b64 s[16:17], 0
	s_wait_kmcnt 0x0
	s_cmp_eq_u64 s[4:5], 0
	s_cselect_b32 s22, -1, 0
	s_delay_alu instid0(SALU_CYCLE_1)
	s_and_b32 vcc_lo, exec_lo, s22
	s_cbranch_vccnz .LBB0_2
; %bb.1:
	s_mul_u64 s[6:7], s[6:7], s[12:13]
	s_delay_alu instid0(SALU_CYCLE_1) | instskip(NEXT) | instid1(SALU_CYCLE_1)
	s_lshl_b64 s[6:7], s[6:7], 2
	s_add_nc_u64 s[16:17], s[4:5], s[6:7]
.LBB0_2:
	s_clause 0x3
	s_load_b256 s[4:11], s[0:1], 0x20
	s_load_b128 s[28:31], s[0:1], 0x8
	s_load_b64 s[18:19], s[0:1], 0x0
	s_load_b64 s[14:15], s[0:1], 0x40
	v_bfe_u32 v22, v0, 10, 10
	s_and_b32 s26, s3, 0xffff
	v_and_b32_e32 v23, 0x3ff, v0
	s_lshl_b32 s2, s26, 4
	s_lshl_b32 s25, s26, 3
	s_add_co_i32 s23, s2, 16
	v_cmp_eq_u32_e64 s2, 0, v22
                                        ; implicit-def: $vgpr12_vgpr13
	s_wait_kmcnt 0x0
	s_mul_u64 s[4:5], s[4:5], s[12:13]
	s_lshl_b64 s[20:21], s[30:31], 4
	s_lshl_b64 s[4:5], s[4:5], 4
	s_lshl_b32 s24, s19, 4
	s_add_nc_u64 s[4:5], s[28:29], s[4:5]
	s_add_co_i32 s24, s23, s24
	s_add_nc_u64 s[20:21], s[4:5], s[20:21]
	s_add_co_i32 s4, s24, s25
	s_and_saveexec_b32 s5, s2
	s_cbranch_execz .LBB0_6
; %bb.3:
	v_mov_b64_e32 v[0:1], 0
	v_mov_b64_e32 v[2:3], 0
	s_mov_b32 s25, exec_lo
	v_cmpx_gt_i32_e64 s18, v23
	s_cbranch_execz .LBB0_5
; %bb.4:
	global_load_b128 v[0:3], v23, s[20:21] scale_offset
.LBB0_5:
	s_wait_xcnt 0x0
	s_or_b32 exec_lo, exec_lo, s25
	s_wait_loadcnt 0x0
	v_cmp_gt_f64_e32 vcc_lo, 0, v[0:1]
	v_lshl_add_u32 v4, v23, 4, 16
	v_xor_b32_e32 v5, 0x80000000, v1
	v_xor_b32_e32 v6, 0x80000000, v3
	v_lshl_add_u32 v7, v23, 2, s4
	ds_store_2addr_b64 v4, v[0:1], v[2:3] offset1:1
	v_cndmask_b32_e32 v1, v1, v5, vcc_lo
	v_cmp_gt_f64_e32 vcc_lo, 0, v[2:3]
	v_cndmask_b32_e32 v3, v3, v6, vcc_lo
	s_delay_alu instid0(VALU_DEP_1)
	v_add_f64_e32 v[12:13], v[0:1], v[2:3]
	v_lshl_add_u32 v0, v23, 3, s24
	ds_store_b64 v0, v[12:13]
	ds_store_b32 v7, v23
.LBB0_6:
	s_or_b32 exec_lo, exec_lo, s5
	s_load_b32 s25, s[0:1], 0x4c
	s_cmp_lt_i32 s19, 1
	s_cbranch_scc1 .LBB0_54
; %bb.7:
	s_mul_u64 s[28:29], s[10:11], s[12:13]
	s_load_b32 s10, s[0:1], 0x18
	v_dual_add_nc_u32 v29, 2, v22 :: v_dual_mov_b32 v9, 0
	v_dual_lshlrev_b32 v8, 2, v23 :: v_dual_bitop2_b32 v0, v23, v22 bitop3:0x54
	s_wait_xcnt 0x0
	s_lshl_b64 s[0:1], s[28:29], 2
	v_lshlrev_b32_e32 v1, 4, v23
	s_add_nc_u64 s[0:1], s[6:7], s[0:1]
	s_lshl_b64 s[6:7], s[8:9], 2
	v_add_nc_u32_e32 v25, s4, v8
	s_add_nc_u64 s[6:7], s[0:1], s[6:7]
	v_cmp_eq_u32_e64 s0, 0, v0
	v_dual_mov_b32 v31, s4 :: v_dual_lshlrev_b32 v0, 4, v22
	v_cmp_gt_u32_e32 vcc_lo, s19, v23
	v_add_nc_u64_e32 v[10:11], s[16:17], v[8:9]
	v_mov_b64_e32 v[14:15], 0
	s_lshr_b32 s11, s3, 16
	s_lshr_b32 s13, s26, 1
	v_lshl_add_u32 v24, v23, 3, s24
	s_wait_kmcnt 0x0
	v_mul_lo_u32 v27, s10, v23
	v_mad_u32 v30, s10, v29, v23
	v_dual_add_nc_u32 v26, 16, v1 :: v_dual_add_nc_u32 v28, s23, v1
	v_cmp_gt_i32_e64 s1, s18, v23
	v_cmp_le_i32_e64 s3, s18, v23
	v_add3_u32 v8, s23, v0, 32
	s_cmp_gt_u32 s26, 1
	s_mov_b32 s8, 0
	s_cselect_b32 s26, -1, 0
	s_add_co_i32 s27, s25, 1
	s_and_b32 s28, s2, vcc_lo
	s_add_co_i32 s29, s19, -1
	s_mul_i32 s30, s10, s11
	s_lshl_b32 s31, s11, 4
	s_mov_b32 s18, 0
	s_mov_b32 s33, 0
	s_branch .LBB0_9
.LBB0_8:                                ;   in Loop: Header=BB0_9 Depth=1
	s_or_b32 exec_lo, exec_lo, s4
	v_dual_add_nc_u32 v30, s10, v30 :: v_dual_add_nc_u32 v8, 16, v8
	s_add_co_i32 s33, s33, 1
	s_delay_alu instid0(SALU_CYCLE_1)
	s_cmp_eq_u32 s33, s19
	s_cbranch_scc1 .LBB0_55
.LBB0_9:                                ; =>This Loop Header: Depth=1
                                        ;     Child Loop BB0_16 Depth 2
                                        ;     Child Loop BB0_48 Depth 2
	v_mov_b32_e32 v2, v23
	s_and_not1_b32 vcc_lo, exec_lo, s26
	s_mov_b32 s5, s13
	s_wait_dscnt 0x0
	s_barrier_signal -1
	s_barrier_wait -1
	s_cbranch_vccnz .LBB0_18
; %bb.10:                               ;   in Loop: Header=BB0_9 Depth=1
	v_cmp_gt_u32_e32 vcc_lo, s5, v23
	s_and_b32 s4, s2, vcc_lo
	s_delay_alu instid0(SALU_CYCLE_1)
	s_and_saveexec_b32 s9, s4
	s_cbranch_execz .LBB0_16
.LBB0_11:                               ;   in Loop: Header=BB0_9 Depth=1
	v_lshl_add_u32 v0, s5, 3, v24
	v_lshl_add_u32 v3, s5, 2, v25
	s_mov_b32 s35, exec_lo
	ds_load_b64 v[0:1], v0
	ds_load_b32 v3, v3
	s_wait_dscnt 0x1
	v_cmp_lt_f64_e64 s34, v[12:13], v[0:1]
	v_cmpx_nlt_f64_e32 v[12:13], v[0:1]
	s_cbranch_execz .LBB0_13
; %bb.12:                               ;   in Loop: Header=BB0_9 Depth=1
	v_cmp_eq_f64_e32 vcc_lo, v[12:13], v[0:1]
	s_wait_dscnt 0x0
	v_cmp_gt_i32_e64 s4, v2, v3
	s_and_not1_b32 s34, s34, exec_lo
	s_and_b32 s4, vcc_lo, s4
	s_delay_alu instid0(SALU_CYCLE_1) | instskip(NEXT) | instid1(SALU_CYCLE_1)
	s_and_b32 s4, s4, exec_lo
	s_or_b32 s34, s34, s4
.LBB0_13:                               ;   in Loop: Header=BB0_9 Depth=1
	s_or_b32 exec_lo, exec_lo, s35
	s_and_saveexec_b32 s4, s34
	s_cbranch_execz .LBB0_15
; %bb.14:                               ;   in Loop: Header=BB0_9 Depth=1
	v_mov_b64_e32 v[12:13], v[0:1]
	s_wait_dscnt 0x0
	v_mov_b32_e32 v2, v3
	ds_store_b64 v24, v[0:1]
	ds_store_b32 v25, v3
.LBB0_15:                               ;   in Loop: Header=BB0_9 Depth=1
	s_or_b32 exec_lo, exec_lo, s4
.LBB0_16:                               ;   Parent Loop BB0_9 Depth=1
                                        ; =>  This Inner Loop Header: Depth=2
	s_delay_alu instid0(SALU_CYCLE_1)
	s_or_b32 exec_lo, exec_lo, s9
	s_lshr_b32 s4, s5, 1
	s_cmp_lt_u32 s5, 2
	s_wait_dscnt 0x0
	s_barrier_signal -1
	s_barrier_wait -1
	s_cbranch_scc1 .LBB0_18
; %bb.17:                               ;   in Loop: Header=BB0_16 Depth=2
	s_mov_b32 s5, s4
	s_delay_alu instid0(SALU_CYCLE_1) | instskip(SKIP_1) | instid1(SALU_CYCLE_1)
	v_cmp_gt_u32_e32 vcc_lo, s5, v23
	s_and_b32 s4, s2, vcc_lo
	s_and_saveexec_b32 s9, s4
	s_cbranch_execnz .LBB0_11
	s_branch .LBB0_16
.LBB0_18:                               ;   in Loop: Header=BB0_9 Depth=1
	ds_load_b32 v0, v31
	s_wait_dscnt 0x0
	v_lshlrev_b32_e32 v1, 4, v0
	v_readfirstlane_b32 s9, v0
	s_delay_alu instid0(VALU_DEP_2)
	v_add_nc_u32_e32 v1, 16, v1
	ds_load_2addr_b64 v[4:7], v1 offset1:1
	s_wait_dscnt 0x0
	v_cmp_eq_f64_e32 vcc_lo, 0, v[4:5]
	v_cmp_eq_f64_e64 s4, 0, v[6:7]
	s_and_b32 s4, vcc_lo, s4
	s_delay_alu instid0(SALU_CYCLE_1)
	s_and_not1_b32 vcc_lo, exec_lo, s4
	s_cbranch_vccz .LBB0_21
; %bb.19:                               ;   in Loop: Header=BB0_9 Depth=1
	v_cmp_ngt_f64_e64 s4, |v[4:5]|, |v[6:7]|
	s_and_b32 vcc_lo, exec_lo, s4
	s_cbranch_vccz .LBB0_22
; %bb.20:                               ;   in Loop: Header=BB0_9 Depth=1
	v_div_scale_f64 v[0:1], null, v[6:7], v[6:7], v[4:5]
	v_div_scale_f64 v[18:19], vcc_lo, v[4:5], v[6:7], v[4:5]
	s_delay_alu instid0(VALU_DEP_2) | instskip(SKIP_1) | instid1(TRANS32_DEP_1)
	v_rcp_f64_e32 v[2:3], v[0:1]
	v_nop
	v_fma_f64 v[16:17], -v[0:1], v[2:3], 1.0
	s_delay_alu instid0(VALU_DEP_1) | instskip(NEXT) | instid1(VALU_DEP_1)
	v_fmac_f64_e32 v[2:3], v[2:3], v[16:17]
	v_fma_f64 v[16:17], -v[0:1], v[2:3], 1.0
	s_delay_alu instid0(VALU_DEP_1) | instskip(NEXT) | instid1(VALU_DEP_1)
	v_fmac_f64_e32 v[2:3], v[2:3], v[16:17]
	v_mul_f64_e32 v[16:17], v[18:19], v[2:3]
	s_delay_alu instid0(VALU_DEP_1) | instskip(NEXT) | instid1(VALU_DEP_1)
	v_fma_f64 v[0:1], -v[0:1], v[16:17], v[18:19]
	v_div_fmas_f64 v[0:1], v[0:1], v[2:3], v[16:17]
	s_delay_alu instid0(VALU_DEP_1) | instskip(NEXT) | instid1(VALU_DEP_1)
	v_div_fixup_f64 v[0:1], v[0:1], v[6:7], v[4:5]
	v_fma_f64 v[2:3], v[4:5], v[0:1], v[6:7]
	s_delay_alu instid0(VALU_DEP_1) | instskip(NEXT) | instid1(VALU_DEP_1)
	v_div_scale_f64 v[16:17], null, v[2:3], v[2:3], 1.0
	v_rcp_f64_e32 v[18:19], v[16:17]
	v_nop
	s_delay_alu instid0(TRANS32_DEP_1) | instskip(NEXT) | instid1(VALU_DEP_1)
	v_fma_f64 v[20:21], -v[16:17], v[18:19], 1.0
	v_fmac_f64_e32 v[18:19], v[18:19], v[20:21]
	s_delay_alu instid0(VALU_DEP_1) | instskip(NEXT) | instid1(VALU_DEP_1)
	v_fma_f64 v[20:21], -v[16:17], v[18:19], 1.0
	v_fmac_f64_e32 v[18:19], v[18:19], v[20:21]
	v_div_scale_f64 v[20:21], vcc_lo, 1.0, v[2:3], 1.0
	s_delay_alu instid0(VALU_DEP_1) | instskip(NEXT) | instid1(VALU_DEP_1)
	v_mul_f64_e32 v[32:33], v[20:21], v[18:19]
	v_fma_f64 v[16:17], -v[16:17], v[32:33], v[20:21]
	s_delay_alu instid0(VALU_DEP_1) | instskip(NEXT) | instid1(VALU_DEP_1)
	v_div_fmas_f64 v[16:17], v[16:17], v[18:19], v[32:33]
	v_div_fixup_f64 v[2:3], v[16:17], v[2:3], 1.0
	s_delay_alu instid0(VALU_DEP_1)
	v_mul_f64_e32 v[0:1], v[0:1], v[2:3]
	v_xor_b32_e32 v3, 0x80000000, v3
	s_cbranch_execz .LBB0_23
	s_branch .LBB0_24
.LBB0_21:                               ;   in Loop: Header=BB0_9 Depth=1
                                        ; implicit-def: $vgpr2_vgpr3
	s_branch .LBB0_25
.LBB0_22:                               ;   in Loop: Header=BB0_9 Depth=1
                                        ; implicit-def: $vgpr2_vgpr3
.LBB0_23:                               ;   in Loop: Header=BB0_9 Depth=1
	v_div_scale_f64 v[0:1], null, v[4:5], v[4:5], v[6:7]
	v_div_scale_f64 v[18:19], vcc_lo, v[6:7], v[4:5], v[6:7]
	s_delay_alu instid0(VALU_DEP_2) | instskip(SKIP_1) | instid1(TRANS32_DEP_1)
	v_rcp_f64_e32 v[2:3], v[0:1]
	v_nop
	v_fma_f64 v[16:17], -v[0:1], v[2:3], 1.0
	s_delay_alu instid0(VALU_DEP_1) | instskip(NEXT) | instid1(VALU_DEP_1)
	v_fmac_f64_e32 v[2:3], v[2:3], v[16:17]
	v_fma_f64 v[16:17], -v[0:1], v[2:3], 1.0
	s_delay_alu instid0(VALU_DEP_1) | instskip(NEXT) | instid1(VALU_DEP_1)
	v_fmac_f64_e32 v[2:3], v[2:3], v[16:17]
	v_mul_f64_e32 v[16:17], v[18:19], v[2:3]
	s_delay_alu instid0(VALU_DEP_1) | instskip(NEXT) | instid1(VALU_DEP_1)
	v_fma_f64 v[0:1], -v[0:1], v[16:17], v[18:19]
	v_div_fmas_f64 v[0:1], v[0:1], v[2:3], v[16:17]
	s_delay_alu instid0(VALU_DEP_1) | instskip(NEXT) | instid1(VALU_DEP_1)
	v_div_fixup_f64 v[2:3], v[0:1], v[4:5], v[6:7]
	v_fma_f64 v[0:1], v[6:7], v[2:3], v[4:5]
	s_delay_alu instid0(VALU_DEP_1) | instskip(NEXT) | instid1(VALU_DEP_1)
	v_div_scale_f64 v[16:17], null, v[0:1], v[0:1], 1.0
	v_rcp_f64_e32 v[18:19], v[16:17]
	v_nop
	s_delay_alu instid0(TRANS32_DEP_1) | instskip(NEXT) | instid1(VALU_DEP_1)
	v_fma_f64 v[20:21], -v[16:17], v[18:19], 1.0
	v_fmac_f64_e32 v[18:19], v[18:19], v[20:21]
	s_delay_alu instid0(VALU_DEP_1) | instskip(NEXT) | instid1(VALU_DEP_1)
	v_fma_f64 v[20:21], -v[16:17], v[18:19], 1.0
	v_fmac_f64_e32 v[18:19], v[18:19], v[20:21]
	v_div_scale_f64 v[20:21], vcc_lo, 1.0, v[0:1], 1.0
	s_delay_alu instid0(VALU_DEP_1) | instskip(NEXT) | instid1(VALU_DEP_1)
	v_mul_f64_e32 v[32:33], v[20:21], v[18:19]
	v_fma_f64 v[16:17], -v[16:17], v[32:33], v[20:21]
	s_delay_alu instid0(VALU_DEP_1) | instskip(NEXT) | instid1(VALU_DEP_1)
	v_div_fmas_f64 v[16:17], v[16:17], v[18:19], v[32:33]
	v_div_fixup_f64 v[0:1], v[16:17], v[0:1], 1.0
	s_delay_alu instid0(VALU_DEP_1)
	v_mul_f64_e64 v[2:3], v[2:3], -v[0:1]
.LBB0_24:                               ;   in Loop: Header=BB0_9 Depth=1
	s_cbranch_execnz .LBB0_26
.LBB0_25:                               ;   in Loop: Header=BB0_9 Depth=1
	v_mov_b64_e32 v[0:1], v[4:5]
	v_mov_b64_e32 v[2:3], v[6:7]
	s_add_co_i32 s4, s33, 1
	s_cmp_eq_u32 s18, 0
	s_mov_b32 s9, s33
	s_cselect_b32 s18, s4, s18
.LBB0_26:                               ;   in Loop: Header=BB0_9 Depth=1
	s_and_saveexec_b32 s4, s0
	s_cbranch_execz .LBB0_28
; %bb.27:                               ;   in Loop: Header=BB0_9 Depth=1
	s_add_co_i32 s5, s27, s9
	s_delay_alu instid0(SALU_CYCLE_1)
	v_dual_mov_b32 v4, s33 :: v_dual_mov_b32 v5, s5
	global_store_b32 v4, v5, s[6:7] scale_offset
.LBB0_28:                               ;   in Loop: Header=BB0_9 Depth=1
	s_wait_xcnt 0x0
	s_or_b32 exec_lo, exec_lo, s4
	s_delay_alu instid0(SALU_CYCLE_1)
	s_mov_b32 s5, exec_lo
	v_cmp_eq_u32_e32 vcc_lo, s9, v23
	v_cmpx_ne_u32_e64 s9, v23
	s_cbranch_execz .LBB0_32
; %bb.29:                               ;   in Loop: Header=BB0_9 Depth=1
	ds_load_2addr_b64 v[16:19], v26 offset1:1
	v_cmp_le_u32_e64 s4, s33, v23
	s_and_b32 s4, s2, s4
	s_delay_alu instid0(SALU_CYCLE_1) | instskip(SKIP_3) | instid1(VALU_DEP_2)
	s_and_b32 s34, s1, s4
	s_wait_dscnt 0x0
	v_mul_f64_e32 v[4:5], v[2:3], v[18:19]
	v_mul_f64_e32 v[6:7], v[0:1], v[18:19]
	v_fma_f64 v[4:5], v[0:1], v[16:17], -v[4:5]
	s_delay_alu instid0(VALU_DEP_2)
	v_fmac_f64_e32 v[6:7], v[2:3], v[16:17]
	s_and_saveexec_b32 s4, s34
	s_cbranch_execz .LBB0_31
; %bb.30:                               ;   in Loop: Header=BB0_9 Depth=1
	v_mad_u32 v0, s33, s10, v23
	global_store_b128 v0, v[4:7], s[20:21] scale_offset
.LBB0_31:                               ;   in Loop: Header=BB0_9 Depth=1
	s_wait_xcnt 0x0
	s_or_b32 exec_lo, exec_lo, s4
	s_delay_alu instid0(VALU_DEP_2) | instskip(NEXT) | instid1(VALU_DEP_2)
	v_mov_b64_e32 v[0:1], v[4:5]
	v_mov_b64_e32 v[2:3], v[6:7]
.LBB0_32:                               ;   in Loop: Header=BB0_9 Depth=1
	s_or_b32 exec_lo, exec_lo, s5
	v_add_nc_u32_e32 v32, s9, v27
	s_and_saveexec_b32 s5, s28
	s_cbranch_execz .LBB0_35
; %bb.33:                               ;   in Loop: Header=BB0_9 Depth=1
	global_load_b128 v[4:7], v32, s[20:21] scale_offset
	v_cmp_eq_u32_e64 s4, s33, v23
	s_wait_loadcnt 0x0
	ds_store_2addr_b64 v28, v[4:5], v[6:7] offset1:1
	s_wait_xcnt 0x0
	s_and_b32 exec_lo, exec_lo, s4
; %bb.34:                               ;   in Loop: Header=BB0_9 Depth=1
	ds_store_b128 v9, v[0:3]
.LBB0_35:                               ;   in Loop: Header=BB0_9 Depth=1
	s_or_b32 exec_lo, exec_lo, s5
	s_cmp_lg_u32 s9, s33
	s_wait_storecnt_dscnt 0x0
	s_cselect_b32 s4, -1, 0
	s_barrier_signal -1
	s_and_b32 s4, s28, s4
	s_barrier_wait -1
	s_and_saveexec_b32 s34, s4
	s_cbranch_execz .LBB0_43
; %bb.36:                               ;   in Loop: Header=BB0_9 Depth=1
	v_add_nc_u32_e32 v4, s33, v27
	s_mov_b64 s[4:5], src_shared_base
	v_cmp_ne_u32_e64 s4, s33, v23
	v_mov_b64_e32 v[18:19], 0
	v_mov_b64_e32 v[20:21], 0
	v_ashrrev_i32_e32 v5, 31, v4
	s_mov_b32 s35, exec_lo
	s_delay_alu instid0(VALU_DEP_1) | instskip(NEXT) | instid1(VALU_DEP_1)
	v_lshl_add_u64 v[16:17], v[4:5], 4, s[20:21]
	v_cndmask_b32_e64 v5, s5, v17, s4
	s_delay_alu instid0(VALU_DEP_2)
	v_cndmask_b32_e64 v4, 0, v16, s4
	flat_load_b128 v[4:7], v[4:5]
	s_wait_xcnt 0x0
	v_cmpx_lt_u32_e64 s33, v23
	s_cbranch_execz .LBB0_38
; %bb.37:                               ;   in Loop: Header=BB0_9 Depth=1
	ds_load_2addr_b64 v[34:37], v28 offset1:1
	ds_load_b128 v[38:41], v9
	s_wait_dscnt 0x0
	v_mul_f64_e32 v[20:21], v[36:37], v[40:41]
	v_mul_f64_e32 v[18:19], v[34:35], v[40:41]
	s_delay_alu instid0(VALU_DEP_2) | instskip(NEXT) | instid1(VALU_DEP_2)
	v_fma_f64 v[20:21], v[34:35], v[38:39], -v[20:21]
	v_fmac_f64_e32 v[18:19], v[36:37], v[38:39]
.LBB0_38:                               ;   in Loop: Header=BB0_9 Depth=1
	s_or_b32 exec_lo, exec_lo, s35
	s_wait_loadcnt_dscnt 0x0
	s_delay_alu instid0(VALU_DEP_2) | instskip(NEXT) | instid1(VALU_DEP_2)
	v_add_f64_e64 v[4:5], v[4:5], -v[20:21]
	v_add_f64_e64 v[6:7], v[6:7], -v[18:19]
	ds_load_2addr_b64 v[18:21], v28 offset1:1
	s_add_co_i32 s5, s33, 1
	s_mov_b32 s35, exec_lo
	global_store_b128 v32, v[4:7], s[20:21] scale_offset
	s_wait_dscnt 0x0
	global_store_b128 v[16:17], v[18:21], off
	s_wait_xcnt 0x0
	v_cmpx_eq_u32_e64 s5, v23
	s_cbranch_execz .LBB0_40
; %bb.39:                               ;   in Loop: Header=BB0_9 Depth=1
	s_lshl_b32 s5, s9, 4
	v_xor_b32_e32 v13, 0x80000000, v5
	s_add_co_i32 s5, s5, 16
	v_xor_b32_e32 v16, 0x80000000, v7
	v_mov_b32_e32 v12, s5
	v_cmp_gt_f64_e64 s5, 0, v[4:5]
	ds_store_2addr_b64 v12, v[4:5], v[6:7] offset1:1
	v_cndmask_b32_e64 v5, v5, v13, s5
	v_cmp_gt_f64_e64 s5, 0, v[6:7]
	s_delay_alu instid0(VALU_DEP_1) | instskip(SKIP_1) | instid1(SALU_CYCLE_1)
	v_cndmask_b32_e64 v7, v7, v16, s5
	s_lshl_b32 s5, s9, 3
	s_add_co_i32 s5, s24, s5
	s_delay_alu instid0(VALU_DEP_1) | instid1(SALU_CYCLE_1)
	v_dual_add_f64 v[12:13], v[6:7], v[4:5] :: v_dual_mov_b32 v4, s5
	ds_store_b64 v4, v[12:13]
.LBB0_40:                               ;   in Loop: Header=BB0_9 Depth=1
	s_or_b32 exec_lo, exec_lo, s35
	s_nor_b32 s5, s22, s4
	s_delay_alu instid0(SALU_CYCLE_1)
	s_and_saveexec_b32 s4, s5
	s_cbranch_execz .LBB0_42
; %bb.41:                               ;   in Loop: Header=BB0_9 Depth=1
	v_mov_b32_e32 v4, s9
	s_clause 0x1
	global_load_b32 v5, v4, s[16:17] scale_offset
	global_load_b32 v6, v[10:11], off
	s_wait_loadcnt 0x1
	global_store_b32 v[10:11], v5, off
	s_wait_loadcnt 0x0
	global_store_b32 v4, v6, s[16:17] scale_offset
.LBB0_42:                               ;   in Loop: Header=BB0_9 Depth=1
	s_wait_xcnt 0x0
	s_or_b32 exec_lo, exec_lo, s4
.LBB0_43:                               ;   in Loop: Header=BB0_9 Depth=1
	s_delay_alu instid0(SALU_CYCLE_1) | instskip(SKIP_2) | instid1(SALU_CYCLE_1)
	s_or_b32 exec_lo, exec_lo, s34
	v_cmp_ge_u32_e64 s4, s33, v23
	s_or_b32 s5, s3, s4
	s_nor_b32 s9, s5, vcc_lo
	s_delay_alu instid0(SALU_CYCLE_1)
	s_and_saveexec_b32 s5, s9
	s_cbranch_execnz .LBB0_46
; %bb.44:                               ;   in Loop: Header=BB0_9 Depth=1
	s_or_b32 exec_lo, exec_lo, s5
	s_and_b32 s5, s2, s4
	s_delay_alu instid0(SALU_CYCLE_1)
	s_and_saveexec_b32 s4, s5
	s_cbranch_execnz .LBB0_52
.LBB0_45:                               ;   in Loop: Header=BB0_9 Depth=1
	s_or_b32 exec_lo, exec_lo, s4
	s_and_saveexec_b32 s4, s2
	s_cbranch_execz .LBB0_8
	s_branch .LBB0_53
.LBB0_46:                               ;   in Loop: Header=BB0_9 Depth=1
	v_add_nc_u32_e32 v4, s33, v29
	s_mov_b32 s9, exec_lo
	s_delay_alu instid0(VALU_DEP_1)
	v_cmpx_gt_i32_e64 s19, v4
	s_cbranch_execz .LBB0_49
; %bb.47:                               ;   in Loop: Header=BB0_9 Depth=1
	v_dual_mov_b32 v5, v8 :: v_dual_mov_b32 v6, v30
	s_mov_b32 s34, 0
.LBB0_48:                               ;   Parent Loop BB0_9 Depth=1
                                        ; =>  This Inner Loop Header: Depth=2
	global_load_b128 v[16:19], v6, s[20:21] scale_offset
	ds_load_2addr_b64 v[32:35], v5 offset1:1
	v_dual_add_nc_u32 v4, s11, v4 :: v_dual_add_nc_u32 v5, s31, v5
	s_delay_alu instid0(VALU_DEP_1) | instskip(SKIP_4) | instid1(VALU_DEP_2)
	v_cmp_le_i32_e32 vcc_lo, s19, v4
	s_or_b32 s34, vcc_lo, s34
	s_wait_dscnt 0x0
	v_mul_f64_e32 v[20:21], v[2:3], v[34:35]
	v_mul_f64_e32 v[34:35], v[0:1], v[34:35]
	v_fma_f64 v[20:21], v[0:1], v[32:33], -v[20:21]
	s_delay_alu instid0(VALU_DEP_2) | instskip(SKIP_1) | instid1(VALU_DEP_2)
	v_fmac_f64_e32 v[34:35], v[2:3], v[32:33]
	s_wait_loadcnt 0x0
	v_add_f64_e64 v[16:17], v[16:17], -v[20:21]
	s_delay_alu instid0(VALU_DEP_2)
	v_add_f64_e64 v[18:19], v[18:19], -v[34:35]
	global_store_b128 v6, v[16:19], s[20:21] scale_offset
	s_wait_xcnt 0x0
	v_add_nc_u32_e32 v6, s30, v6
	s_and_not1_b32 exec_lo, exec_lo, s34
	s_cbranch_execnz .LBB0_48
.LBB0_49:                               ;   in Loop: Header=BB0_9 Depth=1
	s_or_b32 exec_lo, exec_lo, s9
	s_cmp_lt_i32 s33, s29
	s_cselect_b32 s9, -1, 0
	s_delay_alu instid0(SALU_CYCLE_1) | instskip(NEXT) | instid1(SALU_CYCLE_1)
	s_and_b32 s34, s2, s9
	s_and_saveexec_b32 s9, s34
	s_cbranch_execz .LBB0_51
; %bb.50:                               ;   in Loop: Header=BB0_9 Depth=1
	s_add_co_i32 s34, s33, 1
	s_delay_alu instid0(SALU_CYCLE_1) | instskip(SKIP_1) | instid1(SALU_CYCLE_1)
	v_mad_u32 v20, s34, s10, v23
	s_lshl_b32 s34, s33, 4
	s_add_co_i32 s34, s23, s34
	s_delay_alu instid0(SALU_CYCLE_1)
	v_mov_b32_e32 v12, s34
	ds_load_2addr_b64 v[16:19], v12 offset0:2 offset1:3
	global_load_b128 v[4:7], v20, s[20:21] scale_offset
	s_wait_dscnt 0x0
	v_mul_f64_e32 v[12:13], v[2:3], v[18:19]
	v_mul_f64_e32 v[18:19], v[0:1], v[18:19]
	s_delay_alu instid0(VALU_DEP_2) | instskip(NEXT) | instid1(VALU_DEP_2)
	v_fma_f64 v[0:1], v[0:1], v[16:17], -v[12:13]
	v_fmac_f64_e32 v[18:19], v[2:3], v[16:17]
	s_wait_loadcnt 0x0
	s_delay_alu instid0(VALU_DEP_2) | instskip(NEXT) | instid1(VALU_DEP_2)
	v_add_f64_e64 v[0:1], v[4:5], -v[0:1]
	v_add_f64_e64 v[2:3], v[6:7], -v[18:19]
	s_delay_alu instid0(VALU_DEP_2)
	v_cmp_gt_f64_e32 vcc_lo, 0, v[0:1]
	v_xor_b32_e32 v4, 0x80000000, v1
	global_store_b128 v20, v[0:3], s[20:21] scale_offset
	ds_store_2addr_b64 v26, v[0:1], v[2:3] offset1:1
	v_xor_b32_e32 v5, 0x80000000, v3
	s_wait_xcnt 0x0
	v_cndmask_b32_e32 v1, v1, v4, vcc_lo
	v_cmp_gt_f64_e32 vcc_lo, 0, v[2:3]
	s_delay_alu instid0(VALU_DEP_3) | instskip(NEXT) | instid1(VALU_DEP_1)
	v_cndmask_b32_e32 v3, v3, v5, vcc_lo
	v_add_f64_e32 v[12:13], v[0:1], v[2:3]
	ds_store_b64 v24, v[12:13]
.LBB0_51:                               ;   in Loop: Header=BB0_9 Depth=1
	s_or_b32 exec_lo, exec_lo, s9
	s_delay_alu instid0(SALU_CYCLE_1) | instskip(SKIP_1) | instid1(SALU_CYCLE_1)
	s_or_b32 exec_lo, exec_lo, s5
	s_and_b32 s5, s2, s4
	s_and_saveexec_b32 s4, s5
	s_cbranch_execz .LBB0_45
.LBB0_52:                               ;   in Loop: Header=BB0_9 Depth=1
	s_mov_b32 s9, s8
	s_mov_b32 s34, s8
	;; [unrolled: 1-line block ×3, first 2 shown]
	v_mov_b64_e32 v[0:1], s[8:9]
	v_mov_b64_e32 v[12:13], 0
	;; [unrolled: 1-line block ×3, first 2 shown]
	ds_store_2addr_b64 v26, v[0:1], v[2:3] offset1:1
	ds_store_b64 v24, v[14:15]
	s_or_b32 exec_lo, exec_lo, s4
	s_and_saveexec_b32 s4, s2
	s_cbranch_execz .LBB0_8
.LBB0_53:                               ;   in Loop: Header=BB0_9 Depth=1
	ds_store_b32 v25, v23
	s_branch .LBB0_8
.LBB0_54:
	s_mov_b32 s18, 0
.LBB0_55:
	s_wait_xcnt 0x0
	s_mov_b32 s1, 0
	s_mov_b32 s0, exec_lo
	v_cmpx_eq_u32_e32 0, v23
	s_cbranch_execz .LBB0_58
; %bb.56:
	v_mov_b32_e32 v0, s12
	s_cmp_gt_i32 s18, 0
	s_cselect_b32 s0, -1, 0
	global_load_b32 v0, v0, s[14:15] scale_offset
	s_wait_loadcnt 0x0
	v_or_b32_e32 v0, v0, v22
	s_delay_alu instid0(VALU_DEP_1) | instskip(SKIP_1) | instid1(SALU_CYCLE_1)
	v_cmp_eq_u32_e32 vcc_lo, 0, v0
	s_and_b32 s0, vcc_lo, s0
	s_and_b32 exec_lo, exec_lo, s0
	s_cbranch_execz .LBB0_58
; %bb.57:
	s_wait_kmcnt 0x0
	s_add_co_i32 s0, s18, s25
	s_delay_alu instid0(SALU_CYCLE_1) | instskip(SKIP_1) | instid1(SALU_CYCLE_1)
	v_dual_mov_b32 v0, 0 :: v_dual_mov_b32 v1, s0
	s_lshl_b32 s0, s12, 2
	s_add_nc_u64 s[0:1], s[14:15], s[0:1]
	global_store_b32 v0, v1, s[0:1]
.LBB0_58:
	s_endpgm
	.section	.rodata,"a",@progbits
	.p2align	6, 0x0
	.amdhsa_kernel _ZN9rocsolver6v33100L18getf2_panel_kernelI19rocblas_complex_numIdEiiPS3_EEvT0_S5_T2_lS5_lPS5_llPT1_S5_S5_S7_l
		.amdhsa_group_segment_fixed_size 16
		.amdhsa_private_segment_fixed_size 0
		.amdhsa_kernarg_size 352
		.amdhsa_user_sgpr_count 2
		.amdhsa_user_sgpr_dispatch_ptr 0
		.amdhsa_user_sgpr_queue_ptr 0
		.amdhsa_user_sgpr_kernarg_segment_ptr 1
		.amdhsa_user_sgpr_dispatch_id 0
		.amdhsa_user_sgpr_kernarg_preload_length 0
		.amdhsa_user_sgpr_kernarg_preload_offset 0
		.amdhsa_user_sgpr_private_segment_size 0
		.amdhsa_wavefront_size32 1
		.amdhsa_uses_dynamic_stack 0
		.amdhsa_enable_private_segment 0
		.amdhsa_system_sgpr_workgroup_id_x 1
		.amdhsa_system_sgpr_workgroup_id_y 0
		.amdhsa_system_sgpr_workgroup_id_z 1
		.amdhsa_system_sgpr_workgroup_info 0
		.amdhsa_system_vgpr_workitem_id 1
		.amdhsa_next_free_vgpr 42
		.amdhsa_next_free_sgpr 36
		.amdhsa_named_barrier_count 0
		.amdhsa_reserve_vcc 1
		.amdhsa_float_round_mode_32 0
		.amdhsa_float_round_mode_16_64 0
		.amdhsa_float_denorm_mode_32 3
		.amdhsa_float_denorm_mode_16_64 3
		.amdhsa_fp16_overflow 0
		.amdhsa_memory_ordered 1
		.amdhsa_forward_progress 1
		.amdhsa_inst_pref_size 22
		.amdhsa_round_robin_scheduling 0
		.amdhsa_exception_fp_ieee_invalid_op 0
		.amdhsa_exception_fp_denorm_src 0
		.amdhsa_exception_fp_ieee_div_zero 0
		.amdhsa_exception_fp_ieee_overflow 0
		.amdhsa_exception_fp_ieee_underflow 0
		.amdhsa_exception_fp_ieee_inexact 0
		.amdhsa_exception_int_div_zero 0
	.end_amdhsa_kernel
	.section	.text._ZN9rocsolver6v33100L18getf2_panel_kernelI19rocblas_complex_numIdEiiPS3_EEvT0_S5_T2_lS5_lPS5_llPT1_S5_S5_S7_l,"axG",@progbits,_ZN9rocsolver6v33100L18getf2_panel_kernelI19rocblas_complex_numIdEiiPS3_EEvT0_S5_T2_lS5_lPS5_llPT1_S5_S5_S7_l,comdat
.Lfunc_end0:
	.size	_ZN9rocsolver6v33100L18getf2_panel_kernelI19rocblas_complex_numIdEiiPS3_EEvT0_S5_T2_lS5_lPS5_llPT1_S5_S5_S7_l, .Lfunc_end0-_ZN9rocsolver6v33100L18getf2_panel_kernelI19rocblas_complex_numIdEiiPS3_EEvT0_S5_T2_lS5_lPS5_llPT1_S5_S5_S7_l
                                        ; -- End function
	.set _ZN9rocsolver6v33100L18getf2_panel_kernelI19rocblas_complex_numIdEiiPS3_EEvT0_S5_T2_lS5_lPS5_llPT1_S5_S5_S7_l.num_vgpr, 42
	.set _ZN9rocsolver6v33100L18getf2_panel_kernelI19rocblas_complex_numIdEiiPS3_EEvT0_S5_T2_lS5_lPS5_llPT1_S5_S5_S7_l.num_agpr, 0
	.set _ZN9rocsolver6v33100L18getf2_panel_kernelI19rocblas_complex_numIdEiiPS3_EEvT0_S5_T2_lS5_lPS5_llPT1_S5_S5_S7_l.numbered_sgpr, 36
	.set _ZN9rocsolver6v33100L18getf2_panel_kernelI19rocblas_complex_numIdEiiPS3_EEvT0_S5_T2_lS5_lPS5_llPT1_S5_S5_S7_l.num_named_barrier, 0
	.set _ZN9rocsolver6v33100L18getf2_panel_kernelI19rocblas_complex_numIdEiiPS3_EEvT0_S5_T2_lS5_lPS5_llPT1_S5_S5_S7_l.private_seg_size, 0
	.set _ZN9rocsolver6v33100L18getf2_panel_kernelI19rocblas_complex_numIdEiiPS3_EEvT0_S5_T2_lS5_lPS5_llPT1_S5_S5_S7_l.uses_vcc, 1
	.set _ZN9rocsolver6v33100L18getf2_panel_kernelI19rocblas_complex_numIdEiiPS3_EEvT0_S5_T2_lS5_lPS5_llPT1_S5_S5_S7_l.uses_flat_scratch, 0
	.set _ZN9rocsolver6v33100L18getf2_panel_kernelI19rocblas_complex_numIdEiiPS3_EEvT0_S5_T2_lS5_lPS5_llPT1_S5_S5_S7_l.has_dyn_sized_stack, 0
	.set _ZN9rocsolver6v33100L18getf2_panel_kernelI19rocblas_complex_numIdEiiPS3_EEvT0_S5_T2_lS5_lPS5_llPT1_S5_S5_S7_l.has_recursion, 0
	.set _ZN9rocsolver6v33100L18getf2_panel_kernelI19rocblas_complex_numIdEiiPS3_EEvT0_S5_T2_lS5_lPS5_llPT1_S5_S5_S7_l.has_indirect_call, 0
	.section	.AMDGPU.csdata,"",@progbits
; Kernel info:
; codeLenInByte = 2768
; TotalNumSgprs: 38
; NumVgprs: 42
; ScratchSize: 0
; MemoryBound: 1
; FloatMode: 240
; IeeeMode: 1
; LDSByteSize: 16 bytes/workgroup (compile time only)
; SGPRBlocks: 0
; VGPRBlocks: 2
; NumSGPRsForWavesPerEU: 38
; NumVGPRsForWavesPerEU: 42
; NamedBarCnt: 0
; Occupancy: 16
; WaveLimiterHint : 0
; COMPUTE_PGM_RSRC2:SCRATCH_EN: 0
; COMPUTE_PGM_RSRC2:USER_SGPR: 2
; COMPUTE_PGM_RSRC2:TRAP_HANDLER: 0
; COMPUTE_PGM_RSRC2:TGID_X_EN: 1
; COMPUTE_PGM_RSRC2:TGID_Y_EN: 0
; COMPUTE_PGM_RSRC2:TGID_Z_EN: 1
; COMPUTE_PGM_RSRC2:TIDIG_COMP_CNT: 1
	.section	.text._ZN9rocsolver6v33100L23getf2_npvt_panel_kernelI19rocblas_complex_numIdEiiPS3_EEvT0_S5_T2_lS5_lPT1_S5_S5_,"axG",@progbits,_ZN9rocsolver6v33100L23getf2_npvt_panel_kernelI19rocblas_complex_numIdEiiPS3_EEvT0_S5_T2_lS5_lPT1_S5_S5_,comdat
	.globl	_ZN9rocsolver6v33100L23getf2_npvt_panel_kernelI19rocblas_complex_numIdEiiPS3_EEvT0_S5_T2_lS5_lPT1_S5_S5_ ; -- Begin function _ZN9rocsolver6v33100L23getf2_npvt_panel_kernelI19rocblas_complex_numIdEiiPS3_EEvT0_S5_T2_lS5_lPT1_S5_S5_
	.p2align	8
	.type	_ZN9rocsolver6v33100L23getf2_npvt_panel_kernelI19rocblas_complex_numIdEiiPS3_EEvT0_S5_T2_lS5_lPT1_S5_S5_,@function
_ZN9rocsolver6v33100L23getf2_npvt_panel_kernelI19rocblas_complex_numIdEiiPS3_EEvT0_S5_T2_lS5_lPT1_S5_S5_: ; @_ZN9rocsolver6v33100L23getf2_npvt_panel_kernelI19rocblas_complex_numIdEiiPS3_EEvT0_S5_T2_lS5_lPT1_S5_S5_
; %bb.0:
	s_clause 0x3
	s_load_b128 s[4:7], s[0:1], 0x20
	s_load_b128 s[12:15], s[0:1], 0x8
	s_load_b64 s[10:11], s[0:1], 0x0
	s_load_b32 s3, s[0:1], 0x44
	s_bfe_u32 s2, ttmp6, 0x40014
	s_lshr_b32 s8, ttmp7, 16
	s_add_co_i32 s2, s2, 1
	s_bfe_u32 s16, ttmp6, 0x40008
	s_mul_i32 s2, s8, s2
	s_getreg_b32 s17, hwreg(HW_REG_IB_STS2, 6, 4)
	s_add_co_i32 s16, s16, s2
	s_cmp_eq_u32 s17, 0
	s_mov_b32 s9, 0
	v_bfe_u32 v8, v0, 10, 10
	s_cselect_b32 s8, s8, s16
	v_and_b32_e32 v9, 0x3ff, v0
	s_delay_alu instid0(VALU_DEP_2) | instskip(SKIP_2) | instid1(SALU_CYCLE_1)
	v_cmp_eq_u32_e64 s2, 0, v8
	s_wait_kmcnt 0x0
	s_mul_u64 s[4:5], s[4:5], s[8:9]
	s_lshl_b64 s[4:5], s[4:5], 4
	s_delay_alu instid0(SALU_CYCLE_1) | instskip(SKIP_1) | instid1(SALU_CYCLE_1)
	s_add_nc_u64 s[4:5], s[12:13], s[4:5]
	s_lshl_b64 s[12:13], s[14:15], 4
	s_add_nc_u64 s[12:13], s[4:5], s[12:13]
	s_and_saveexec_b32 s4, s2
	s_cbranch_execz .LBB1_4
; %bb.1:
	v_mov_b64_e32 v[0:1], 0
	v_mov_b64_e32 v[2:3], 0
	s_mov_b32 s5, exec_lo
	v_cmpx_gt_i32_e64 s10, v9
	s_cbranch_execz .LBB1_3
; %bb.2:
	global_load_b128 v[0:3], v9, s[12:13] scale_offset
.LBB1_3:
	s_wait_xcnt 0x0
	s_or_b32 exec_lo, exec_lo, s5
	v_lshl_add_u32 v4, v9, 4, 0
	s_wait_loadcnt 0x0
	ds_store_2addr_b64 v4, v[0:1], v[2:3] offset1:1
.LBB1_4:
	s_or_b32 exec_lo, exec_lo, s4
	s_cmp_lt_i32 s11, 1
	s_cbranch_scc1 .LBB1_29
; %bb.5:
	s_load_b32 s9, s[0:1], 0x18
	v_dual_lshlrev_b32 v0, 4, v9 :: v_dual_add_nc_u32 v10, 2, v8
	s_and_b32 s4, s3, 0xffff
	v_lshlrev_b32_e32 v1, 4, v8
	s_lshl_b32 s4, s4, 4
	s_lshr_b32 s16, s3, 16
	v_cmp_gt_i32_e64 s3, s10, v9
	v_cmp_gt_u32_e32 vcc_lo, s11, v9
	s_add_co_i32 s10, s4, 0
	s_delay_alu instid0(SALU_CYCLE_1)
	v_dual_add_nc_u32 v11, 0, v0 :: v_dual_add_nc_u32 v14, s10, v0
	v_add3_u32 v15, s10, v1, 32
	s_mov_b32 s14, 0
	s_and_b32 s17, s2, vcc_lo
	s_add_co_i32 s18, s11, -1
	s_lshl_b32 s20, s16, 4
	s_mov_b32 s5, 0
	s_mov_b32 s21, 0
	s_wait_kmcnt 0x0
	v_mul_lo_u32 v12, s9, v9
	v_mad_u32 v13, s9, v10, v9
	s_mul_i32 s19, s9, s16
	s_branch .LBB1_7
.LBB1_6:                                ;   in Loop: Header=BB1_7 Depth=1
	s_or_b32 exec_lo, exec_lo, s4
	v_dual_add_nc_u32 v13, s9, v13 :: v_dual_add_nc_u32 v15, 16, v15
	s_add_co_i32 s21, s21, 1
	s_delay_alu instid0(SALU_CYCLE_1)
	s_cmp_eq_u32 s21, s11
	s_cbranch_scc1 .LBB1_30
.LBB1_7:                                ; =>This Loop Header: Depth=1
                                        ;     Child Loop BB1_21 Depth 2
	s_lshl_b32 s15, s21, 4
	s_wait_dscnt 0x0
	s_add_co_i32 s4, s15, 0
	s_barrier_signal -1
	v_mov_b32_e32 v0, s4
	s_barrier_wait -1
	ds_load_2addr_b64 v[0:3], v0 offset1:1
	s_wait_dscnt 0x0
	v_cmp_eq_f64_e32 vcc_lo, 0, v[0:1]
	v_cmp_eq_f64_e64 s4, 0, v[2:3]
	s_and_b32 s4, vcc_lo, s4
	s_cmp_eq_u32 s5, 0
	s_cselect_b32 s22, -1, 0
	s_delay_alu instid0(SALU_CYCLE_1) | instskip(NEXT) | instid1(SALU_CYCLE_1)
	s_and_b32 s4, s4, s22
	s_and_not1_b32 vcc_lo, exec_lo, s4
	s_cbranch_vccz .LBB1_10
; %bb.8:                                ;   in Loop: Header=BB1_7 Depth=1
	v_cmp_ngt_f64_e64 s4, |v[0:1]|, |v[2:3]|
	s_and_b32 vcc_lo, exec_lo, s4
	s_cbranch_vccz .LBB1_11
; %bb.9:                                ;   in Loop: Header=BB1_7 Depth=1
	v_div_scale_f64 v[4:5], null, v[2:3], v[2:3], v[0:1]
	v_div_scale_f64 v[18:19], vcc_lo, v[0:1], v[2:3], v[0:1]
	s_delay_alu instid0(VALU_DEP_2) | instskip(SKIP_1) | instid1(TRANS32_DEP_1)
	v_rcp_f64_e32 v[6:7], v[4:5]
	v_nop
	v_fma_f64 v[16:17], -v[4:5], v[6:7], 1.0
	s_delay_alu instid0(VALU_DEP_1) | instskip(NEXT) | instid1(VALU_DEP_1)
	v_fmac_f64_e32 v[6:7], v[6:7], v[16:17]
	v_fma_f64 v[16:17], -v[4:5], v[6:7], 1.0
	s_delay_alu instid0(VALU_DEP_1) | instskip(NEXT) | instid1(VALU_DEP_1)
	v_fmac_f64_e32 v[6:7], v[6:7], v[16:17]
	v_mul_f64_e32 v[16:17], v[18:19], v[6:7]
	s_delay_alu instid0(VALU_DEP_1) | instskip(NEXT) | instid1(VALU_DEP_1)
	v_fma_f64 v[4:5], -v[4:5], v[16:17], v[18:19]
	v_div_fmas_f64 v[4:5], v[4:5], v[6:7], v[16:17]
	s_delay_alu instid0(VALU_DEP_1) | instskip(NEXT) | instid1(VALU_DEP_1)
	v_div_fixup_f64 v[6:7], v[4:5], v[2:3], v[0:1]
	v_fma_f64 v[4:5], v[0:1], v[6:7], v[2:3]
	s_delay_alu instid0(VALU_DEP_1) | instskip(NEXT) | instid1(VALU_DEP_1)
	v_div_scale_f64 v[16:17], null, v[4:5], v[4:5], 1.0
	v_rcp_f64_e32 v[18:19], v[16:17]
	v_nop
	s_delay_alu instid0(TRANS32_DEP_1) | instskip(NEXT) | instid1(VALU_DEP_1)
	v_fma_f64 v[20:21], -v[16:17], v[18:19], 1.0
	v_fmac_f64_e32 v[18:19], v[18:19], v[20:21]
	s_delay_alu instid0(VALU_DEP_1) | instskip(NEXT) | instid1(VALU_DEP_1)
	v_fma_f64 v[20:21], -v[16:17], v[18:19], 1.0
	v_fmac_f64_e32 v[18:19], v[18:19], v[20:21]
	v_div_scale_f64 v[20:21], vcc_lo, 1.0, v[4:5], 1.0
	s_delay_alu instid0(VALU_DEP_1) | instskip(NEXT) | instid1(VALU_DEP_1)
	v_mul_f64_e32 v[22:23], v[20:21], v[18:19]
	v_fma_f64 v[16:17], -v[16:17], v[22:23], v[20:21]
	s_delay_alu instid0(VALU_DEP_1) | instskip(NEXT) | instid1(VALU_DEP_1)
	v_div_fmas_f64 v[16:17], v[16:17], v[18:19], v[22:23]
	v_div_fixup_f64 v[4:5], v[16:17], v[4:5], 1.0
	s_delay_alu instid0(VALU_DEP_1)
	v_mul_f64_e32 v[6:7], v[6:7], v[4:5]
	v_xor_b32_e32 v5, 0x80000000, v5
	s_cbranch_execz .LBB1_12
	s_branch .LBB1_13
.LBB1_10:                               ;   in Loop: Header=BB1_7 Depth=1
                                        ; implicit-def: $vgpr4_vgpr5
                                        ; implicit-def: $vgpr6_vgpr7
	s_branch .LBB1_14
.LBB1_11:                               ;   in Loop: Header=BB1_7 Depth=1
                                        ; implicit-def: $vgpr4_vgpr5
                                        ; implicit-def: $vgpr6_vgpr7
.LBB1_12:                               ;   in Loop: Header=BB1_7 Depth=1
	v_div_scale_f64 v[4:5], null, v[0:1], v[0:1], v[2:3]
	v_div_scale_f64 v[18:19], vcc_lo, v[2:3], v[0:1], v[2:3]
	s_delay_alu instid0(VALU_DEP_2) | instskip(SKIP_1) | instid1(TRANS32_DEP_1)
	v_rcp_f64_e32 v[6:7], v[4:5]
	v_nop
	v_fma_f64 v[16:17], -v[4:5], v[6:7], 1.0
	s_delay_alu instid0(VALU_DEP_1) | instskip(NEXT) | instid1(VALU_DEP_1)
	v_fmac_f64_e32 v[6:7], v[6:7], v[16:17]
	v_fma_f64 v[16:17], -v[4:5], v[6:7], 1.0
	s_delay_alu instid0(VALU_DEP_1) | instskip(NEXT) | instid1(VALU_DEP_1)
	v_fmac_f64_e32 v[6:7], v[6:7], v[16:17]
	v_mul_f64_e32 v[16:17], v[18:19], v[6:7]
	s_delay_alu instid0(VALU_DEP_1) | instskip(NEXT) | instid1(VALU_DEP_1)
	v_fma_f64 v[4:5], -v[4:5], v[16:17], v[18:19]
	v_div_fmas_f64 v[4:5], v[4:5], v[6:7], v[16:17]
	s_delay_alu instid0(VALU_DEP_1) | instskip(NEXT) | instid1(VALU_DEP_1)
	v_div_fixup_f64 v[4:5], v[4:5], v[0:1], v[2:3]
	v_fma_f64 v[6:7], v[2:3], v[4:5], v[0:1]
	s_delay_alu instid0(VALU_DEP_1) | instskip(NEXT) | instid1(VALU_DEP_1)
	v_div_scale_f64 v[16:17], null, v[6:7], v[6:7], 1.0
	v_rcp_f64_e32 v[18:19], v[16:17]
	v_nop
	s_delay_alu instid0(TRANS32_DEP_1) | instskip(NEXT) | instid1(VALU_DEP_1)
	v_fma_f64 v[20:21], -v[16:17], v[18:19], 1.0
	v_fmac_f64_e32 v[18:19], v[18:19], v[20:21]
	s_delay_alu instid0(VALU_DEP_1) | instskip(NEXT) | instid1(VALU_DEP_1)
	v_fma_f64 v[20:21], -v[16:17], v[18:19], 1.0
	v_fmac_f64_e32 v[18:19], v[18:19], v[20:21]
	v_div_scale_f64 v[20:21], vcc_lo, 1.0, v[6:7], 1.0
	s_delay_alu instid0(VALU_DEP_1) | instskip(NEXT) | instid1(VALU_DEP_1)
	v_mul_f64_e32 v[22:23], v[20:21], v[18:19]
	v_fma_f64 v[16:17], -v[16:17], v[22:23], v[20:21]
	s_delay_alu instid0(VALU_DEP_1) | instskip(NEXT) | instid1(VALU_DEP_1)
	v_div_fmas_f64 v[16:17], v[16:17], v[18:19], v[22:23]
	v_div_fixup_f64 v[6:7], v[16:17], v[6:7], 1.0
	s_delay_alu instid0(VALU_DEP_1)
	v_mul_f64_e64 v[4:5], v[4:5], -v[6:7]
.LBB1_13:                               ;   in Loop: Header=BB1_7 Depth=1
	s_cbranch_execnz .LBB1_15
.LBB1_14:                               ;   in Loop: Header=BB1_7 Depth=1
	v_mov_b64_e32 v[6:7], v[0:1]
	v_mov_b64_e32 v[4:5], v[2:3]
	s_add_co_i32 s5, s21, 1
.LBB1_15:                               ;   in Loop: Header=BB1_7 Depth=1
	s_mov_b32 s4, exec_lo
	v_cmpx_ne_u32_e64 s21, v9
	s_cbranch_execnz .LBB1_26
; %bb.16:                               ;   in Loop: Header=BB1_7 Depth=1
	s_or_b32 exec_lo, exec_lo, s4
	s_and_saveexec_b32 s4, s17
	s_cbranch_execz .LBB1_18
.LBB1_17:                               ;   in Loop: Header=BB1_7 Depth=1
	v_add_nc_u32_e32 v0, s21, v12
	global_load_b128 v[0:3], v0, s[12:13] scale_offset
	s_wait_loadcnt 0x0
	ds_store_2addr_b64 v14, v[0:1], v[2:3] offset1:1
.LBB1_18:                               ;   in Loop: Header=BB1_7 Depth=1
	s_wait_xcnt 0x0
	s_or_b32 exec_lo, exec_lo, s4
	v_cmp_lt_u32_e32 vcc_lo, s21, v9
	s_wait_storecnt_dscnt 0x0
	s_barrier_signal -1
	s_barrier_wait -1
	s_and_b32 s22, s3, vcc_lo
	s_delay_alu instid0(SALU_CYCLE_1)
	s_and_saveexec_b32 s4, s22
	s_cbranch_execz .LBB1_24
; %bb.19:                               ;   in Loop: Header=BB1_7 Depth=1
	v_add_nc_u32_e32 v0, s21, v10
	s_mov_b32 s22, exec_lo
	s_delay_alu instid0(VALU_DEP_1)
	v_cmpx_gt_i32_e64 s11, v0
	s_cbranch_execz .LBB1_22
; %bb.20:                               ;   in Loop: Header=BB1_7 Depth=1
	v_dual_mov_b32 v1, v15 :: v_dual_mov_b32 v2, v13
	s_mov_b32 s23, 0
.LBB1_21:                               ;   Parent Loop BB1_7 Depth=1
                                        ; =>  This Inner Loop Header: Depth=2
	global_load_b128 v[16:19], v2, s[12:13] scale_offset
	ds_load_2addr_b64 v[20:23], v1 offset1:1
	v_dual_add_nc_u32 v0, s16, v0 :: v_dual_add_nc_u32 v1, s20, v1
	s_delay_alu instid0(VALU_DEP_1) | instskip(SKIP_4) | instid1(VALU_DEP_2)
	v_cmp_le_i32_e32 vcc_lo, s11, v0
	s_or_b32 s23, vcc_lo, s23
	s_wait_dscnt 0x0
	v_mul_f64_e32 v[24:25], v[4:5], v[22:23]
	v_mul_f64_e32 v[22:23], v[6:7], v[22:23]
	v_fma_f64 v[24:25], v[6:7], v[20:21], -v[24:25]
	s_delay_alu instid0(VALU_DEP_2) | instskip(SKIP_1) | instid1(VALU_DEP_2)
	v_fmac_f64_e32 v[22:23], v[4:5], v[20:21]
	s_wait_loadcnt 0x0
	v_add_f64_e64 v[16:17], v[16:17], -v[24:25]
	s_delay_alu instid0(VALU_DEP_2)
	v_add_f64_e64 v[18:19], v[18:19], -v[22:23]
	global_store_b128 v2, v[16:19], s[12:13] scale_offset
	s_wait_xcnt 0x0
	v_add_nc_u32_e32 v2, s19, v2
	s_and_not1_b32 exec_lo, exec_lo, s23
	s_cbranch_execnz .LBB1_21
.LBB1_22:                               ;   in Loop: Header=BB1_7 Depth=1
	s_or_b32 exec_lo, exec_lo, s22
	s_cmp_lt_i32 s21, s18
	s_cselect_b32 s22, -1, 0
	s_delay_alu instid0(SALU_CYCLE_1) | instskip(NEXT) | instid1(SALU_CYCLE_1)
	s_and_b32 s22, s2, s22
	s_and_b32 exec_lo, exec_lo, s22
	s_cbranch_execz .LBB1_24
; %bb.23:                               ;   in Loop: Header=BB1_7 Depth=1
	s_add_co_i32 s22, s21, 1
	s_add_co_i32 s15, s10, s15
	v_mad_u32 v22, s22, s9, v9
	v_mov_b32_e32 v16, s15
	ds_load_2addr_b64 v[16:19], v16 offset0:2 offset1:3
	global_load_b128 v[0:3], v22, s[12:13] scale_offset
	s_wait_dscnt 0x0
	v_mul_f64_e32 v[20:21], v[4:5], v[18:19]
	v_mul_f64_e32 v[18:19], v[6:7], v[18:19]
	s_delay_alu instid0(VALU_DEP_2) | instskip(NEXT) | instid1(VALU_DEP_2)
	v_fma_f64 v[6:7], v[6:7], v[16:17], -v[20:21]
	v_fmac_f64_e32 v[18:19], v[4:5], v[16:17]
	s_wait_loadcnt 0x0
	s_delay_alu instid0(VALU_DEP_2) | instskip(NEXT) | instid1(VALU_DEP_2)
	v_add_f64_e64 v[0:1], v[0:1], -v[6:7]
	v_add_f64_e64 v[2:3], v[2:3], -v[18:19]
	global_store_b128 v22, v[0:3], s[12:13] scale_offset
	ds_store_2addr_b64 v11, v[0:1], v[2:3] offset1:1
.LBB1_24:                               ;   in Loop: Header=BB1_7 Depth=1
	s_wait_xcnt 0x0
	s_or_b32 exec_lo, exec_lo, s4
	v_cmp_ge_u32_e32 vcc_lo, s21, v9
	s_and_b32 s15, s2, vcc_lo
	s_delay_alu instid0(SALU_CYCLE_1)
	s_and_saveexec_b32 s4, s15
	s_cbranch_execz .LBB1_6
; %bb.25:                               ;   in Loop: Header=BB1_7 Depth=1
	s_mov_b32 s15, s14
	s_mov_b32 s22, s14
	;; [unrolled: 1-line block ×3, first 2 shown]
	v_mov_b64_e32 v[0:1], s[14:15]
	v_mov_b64_e32 v[2:3], s[22:23]
	ds_store_2addr_b64 v11, v[0:1], v[2:3] offset1:1
	s_branch .LBB1_6
.LBB1_26:                               ;   in Loop: Header=BB1_7 Depth=1
	ds_load_2addr_b64 v[16:19], v11 offset1:1
	v_cmp_le_u32_e32 vcc_lo, s21, v9
	s_and_b32 s22, s2, vcc_lo
	s_delay_alu instid0(SALU_CYCLE_1) | instskip(SKIP_3) | instid1(VALU_DEP_2)
	s_and_b32 s23, s3, s22
	s_wait_dscnt 0x0
	v_mul_f64_e32 v[0:1], v[4:5], v[18:19]
	v_mul_f64_e32 v[2:3], v[6:7], v[18:19]
	v_fma_f64 v[0:1], v[6:7], v[16:17], -v[0:1]
	s_delay_alu instid0(VALU_DEP_2)
	v_fmac_f64_e32 v[2:3], v[4:5], v[16:17]
	s_and_saveexec_b32 s22, s23
	s_cbranch_execz .LBB1_28
; %bb.27:                               ;   in Loop: Header=BB1_7 Depth=1
	v_mad_u32 v4, s21, s9, v9
	global_store_b128 v4, v[0:3], s[12:13] scale_offset
.LBB1_28:                               ;   in Loop: Header=BB1_7 Depth=1
	s_wait_xcnt 0x0
	s_or_b32 exec_lo, exec_lo, s22
	s_delay_alu instid0(VALU_DEP_2) | instskip(NEXT) | instid1(VALU_DEP_2)
	v_mov_b64_e32 v[6:7], v[0:1]
	v_mov_b64_e32 v[4:5], v[2:3]
	s_or_b32 exec_lo, exec_lo, s4
	s_and_saveexec_b32 s4, s17
	s_cbranch_execnz .LBB1_17
	s_branch .LBB1_18
.LBB1_29:
	s_mov_b32 s5, 0
.LBB1_30:
	s_mov_b32 s3, 0
	s_mov_b32 s2, exec_lo
	v_cmpx_eq_u32_e32 0, v9
	s_cbranch_execz .LBB1_33
; %bb.31:
	v_mov_b32_e32 v0, s8
	s_cmp_gt_i32 s5, 0
	s_cselect_b32 s2, -1, 0
	global_load_b32 v0, v0, s[6:7] scale_offset
	s_wait_loadcnt 0x0
	v_or_b32_e32 v0, v0, v8
	s_delay_alu instid0(VALU_DEP_1) | instskip(SKIP_1) | instid1(SALU_CYCLE_1)
	v_cmp_eq_u32_e32 vcc_lo, 0, v0
	s_and_b32 s2, vcc_lo, s2
	s_and_b32 exec_lo, exec_lo, s2
	s_cbranch_execz .LBB1_33
; %bb.32:
	s_load_b32 s0, s[0:1], 0x34
	s_lshl_b32 s2, s8, 2
	s_wait_kmcnt 0x0
	s_add_co_i32 s0, s5, s0
	s_delay_alu instid0(SALU_CYCLE_1)
	v_dual_mov_b32 v0, 0 :: v_dual_mov_b32 v1, s0
	s_add_nc_u64 s[0:1], s[6:7], s[2:3]
	global_store_b32 v0, v1, s[0:1]
.LBB1_33:
	s_endpgm
	.section	.rodata,"a",@progbits
	.p2align	6, 0x0
	.amdhsa_kernel _ZN9rocsolver6v33100L23getf2_npvt_panel_kernelI19rocblas_complex_numIdEiiPS3_EEvT0_S5_T2_lS5_lPT1_S5_S5_
		.amdhsa_group_segment_fixed_size 0
		.amdhsa_private_segment_fixed_size 0
		.amdhsa_kernarg_size 312
		.amdhsa_user_sgpr_count 2
		.amdhsa_user_sgpr_dispatch_ptr 0
		.amdhsa_user_sgpr_queue_ptr 0
		.amdhsa_user_sgpr_kernarg_segment_ptr 1
		.amdhsa_user_sgpr_dispatch_id 0
		.amdhsa_user_sgpr_kernarg_preload_length 0
		.amdhsa_user_sgpr_kernarg_preload_offset 0
		.amdhsa_user_sgpr_private_segment_size 0
		.amdhsa_wavefront_size32 1
		.amdhsa_uses_dynamic_stack 0
		.amdhsa_enable_private_segment 0
		.amdhsa_system_sgpr_workgroup_id_x 1
		.amdhsa_system_sgpr_workgroup_id_y 0
		.amdhsa_system_sgpr_workgroup_id_z 1
		.amdhsa_system_sgpr_workgroup_info 0
		.amdhsa_system_vgpr_workitem_id 1
		.amdhsa_next_free_vgpr 26
		.amdhsa_next_free_sgpr 24
		.amdhsa_named_barrier_count 0
		.amdhsa_reserve_vcc 1
		.amdhsa_float_round_mode_32 0
		.amdhsa_float_round_mode_16_64 0
		.amdhsa_float_denorm_mode_32 3
		.amdhsa_float_denorm_mode_16_64 3
		.amdhsa_fp16_overflow 0
		.amdhsa_memory_ordered 1
		.amdhsa_forward_progress 1
		.amdhsa_inst_pref_size 13
		.amdhsa_round_robin_scheduling 0
		.amdhsa_exception_fp_ieee_invalid_op 0
		.amdhsa_exception_fp_denorm_src 0
		.amdhsa_exception_fp_ieee_div_zero 0
		.amdhsa_exception_fp_ieee_overflow 0
		.amdhsa_exception_fp_ieee_underflow 0
		.amdhsa_exception_fp_ieee_inexact 0
		.amdhsa_exception_int_div_zero 0
	.end_amdhsa_kernel
	.section	.text._ZN9rocsolver6v33100L23getf2_npvt_panel_kernelI19rocblas_complex_numIdEiiPS3_EEvT0_S5_T2_lS5_lPT1_S5_S5_,"axG",@progbits,_ZN9rocsolver6v33100L23getf2_npvt_panel_kernelI19rocblas_complex_numIdEiiPS3_EEvT0_S5_T2_lS5_lPT1_S5_S5_,comdat
.Lfunc_end1:
	.size	_ZN9rocsolver6v33100L23getf2_npvt_panel_kernelI19rocblas_complex_numIdEiiPS3_EEvT0_S5_T2_lS5_lPT1_S5_S5_, .Lfunc_end1-_ZN9rocsolver6v33100L23getf2_npvt_panel_kernelI19rocblas_complex_numIdEiiPS3_EEvT0_S5_T2_lS5_lPT1_S5_S5_
                                        ; -- End function
	.set _ZN9rocsolver6v33100L23getf2_npvt_panel_kernelI19rocblas_complex_numIdEiiPS3_EEvT0_S5_T2_lS5_lPT1_S5_S5_.num_vgpr, 26
	.set _ZN9rocsolver6v33100L23getf2_npvt_panel_kernelI19rocblas_complex_numIdEiiPS3_EEvT0_S5_T2_lS5_lPT1_S5_S5_.num_agpr, 0
	.set _ZN9rocsolver6v33100L23getf2_npvt_panel_kernelI19rocblas_complex_numIdEiiPS3_EEvT0_S5_T2_lS5_lPT1_S5_S5_.numbered_sgpr, 24
	.set _ZN9rocsolver6v33100L23getf2_npvt_panel_kernelI19rocblas_complex_numIdEiiPS3_EEvT0_S5_T2_lS5_lPT1_S5_S5_.num_named_barrier, 0
	.set _ZN9rocsolver6v33100L23getf2_npvt_panel_kernelI19rocblas_complex_numIdEiiPS3_EEvT0_S5_T2_lS5_lPT1_S5_S5_.private_seg_size, 0
	.set _ZN9rocsolver6v33100L23getf2_npvt_panel_kernelI19rocblas_complex_numIdEiiPS3_EEvT0_S5_T2_lS5_lPT1_S5_S5_.uses_vcc, 1
	.set _ZN9rocsolver6v33100L23getf2_npvt_panel_kernelI19rocblas_complex_numIdEiiPS3_EEvT0_S5_T2_lS5_lPT1_S5_S5_.uses_flat_scratch, 0
	.set _ZN9rocsolver6v33100L23getf2_npvt_panel_kernelI19rocblas_complex_numIdEiiPS3_EEvT0_S5_T2_lS5_lPT1_S5_S5_.has_dyn_sized_stack, 0
	.set _ZN9rocsolver6v33100L23getf2_npvt_panel_kernelI19rocblas_complex_numIdEiiPS3_EEvT0_S5_T2_lS5_lPT1_S5_S5_.has_recursion, 0
	.set _ZN9rocsolver6v33100L23getf2_npvt_panel_kernelI19rocblas_complex_numIdEiiPS3_EEvT0_S5_T2_lS5_lPT1_S5_S5_.has_indirect_call, 0
	.section	.AMDGPU.csdata,"",@progbits
; Kernel info:
; codeLenInByte = 1632
; TotalNumSgprs: 26
; NumVgprs: 26
; ScratchSize: 0
; MemoryBound: 1
; FloatMode: 240
; IeeeMode: 1
; LDSByteSize: 0 bytes/workgroup (compile time only)
; SGPRBlocks: 0
; VGPRBlocks: 1
; NumSGPRsForWavesPerEU: 26
; NumVGPRsForWavesPerEU: 26
; NamedBarCnt: 0
; Occupancy: 16
; WaveLimiterHint : 0
; COMPUTE_PGM_RSRC2:SCRATCH_EN: 0
; COMPUTE_PGM_RSRC2:USER_SGPR: 2
; COMPUTE_PGM_RSRC2:TRAP_HANDLER: 0
; COMPUTE_PGM_RSRC2:TGID_X_EN: 1
; COMPUTE_PGM_RSRC2:TGID_Y_EN: 0
; COMPUTE_PGM_RSRC2:TGID_Z_EN: 1
; COMPUTE_PGM_RSRC2:TIDIG_COMP_CNT: 1
	.section	.text._ZN9rocsolver6v33100L18getf2_panel_kernelI19rocblas_complex_numIdEiiPKPS3_EEvT0_S7_T2_lS7_lPS7_llPT1_S7_S7_S9_l,"axG",@progbits,_ZN9rocsolver6v33100L18getf2_panel_kernelI19rocblas_complex_numIdEiiPKPS3_EEvT0_S7_T2_lS7_lPS7_llPT1_S7_S7_S9_l,comdat
	.globl	_ZN9rocsolver6v33100L18getf2_panel_kernelI19rocblas_complex_numIdEiiPKPS3_EEvT0_S7_T2_lS7_lPS7_llPT1_S7_S7_S9_l ; -- Begin function _ZN9rocsolver6v33100L18getf2_panel_kernelI19rocblas_complex_numIdEiiPKPS3_EEvT0_S7_T2_lS7_lPS7_llPT1_S7_S7_S9_l
	.p2align	8
	.type	_ZN9rocsolver6v33100L18getf2_panel_kernelI19rocblas_complex_numIdEiiPKPS3_EEvT0_S7_T2_lS7_lPS7_llPT1_S7_S7_S9_l,@function
_ZN9rocsolver6v33100L18getf2_panel_kernelI19rocblas_complex_numIdEiiPKPS3_EEvT0_S7_T2_lS7_lPS7_llPT1_S7_S7_S9_l: ; @_ZN9rocsolver6v33100L18getf2_panel_kernelI19rocblas_complex_numIdEiiPKPS3_EEvT0_S7_T2_lS7_lPS7_llPT1_S7_S7_S9_l
; %bb.0:
	s_clause 0x1
	s_load_b128 s[4:7], s[0:1], 0x8
	s_load_b128 s[8:11], s[0:1], 0x50
	s_bfe_u32 s2, ttmp6, 0x40014
	s_lshr_b32 s3, ttmp7, 16
	s_add_co_i32 s2, s2, 1
	s_bfe_u32 s12, ttmp6, 0x40008
	s_mul_i32 s2, s3, s2
	s_getreg_b32 s13, hwreg(HW_REG_IB_STS2, 6, 4)
	s_add_co_i32 s12, s12, s2
	s_cmp_eq_u32 s13, 0
	s_mov_b32 s13, 0
	s_cselect_b32 s12, s3, s12
	s_mov_b64 s[14:15], 0
	s_load_b32 s3, s[0:1], 0x6c
	s_wait_kmcnt 0x0
	s_load_b64 s[18:19], s[4:5], s12 offset:0x0 scale_offset
	s_cmp_eq_u64 s[8:9], 0
	s_cselect_b32 s20, -1, 0
	s_delay_alu instid0(SALU_CYCLE_1)
	s_and_b32 vcc_lo, exec_lo, s20
	s_cbranch_vccnz .LBB2_2
; %bb.1:
	s_wait_xcnt 0x0
	s_mul_u64 s[4:5], s[10:11], s[12:13]
	s_delay_alu instid0(SALU_CYCLE_1) | instskip(NEXT) | instid1(SALU_CYCLE_1)
	s_lshl_b64 s[4:5], s[4:5], 2
	s_add_nc_u64 s[14:15], s[8:9], s[4:5]
.LBB2_2:
	s_load_b64 s[16:17], s[0:1], 0x0
	s_and_b32 s26, s3, 0xffff
	v_bfe_u32 v22, v0, 10, 10
	s_lshl_b32 s2, s26, 4
	s_wait_xcnt 0x0
	s_lshl_b64 s[4:5], s[6:7], 4
	s_add_co_i32 s21, s2, 16
	v_and_b32_e32 v23, 0x3ff, v0
	v_cmp_eq_u32_e64 s2, 0, v22
	s_wait_kmcnt 0x0
	s_add_nc_u64 s[18:19], s[18:19], s[4:5]
                                        ; implicit-def: $vgpr12_vgpr13
	s_lshl_b32 s6, s17, 4
	s_delay_alu instid0(SALU_CYCLE_1) | instskip(SKIP_1) | instid1(SALU_CYCLE_1)
	s_add_co_i32 s22, s21, s6
	s_lshl_b32 s6, s26, 3
	s_add_co_i32 s31, s22, s6
	s_and_saveexec_b32 s4, s2
	s_cbranch_execz .LBB2_6
; %bb.3:
	v_mov_b64_e32 v[0:1], 0
	v_mov_b64_e32 v[2:3], 0
	s_mov_b32 s5, exec_lo
	v_cmpx_gt_i32_e64 s16, v23
	s_cbranch_execz .LBB2_5
; %bb.4:
	flat_load_b128 v[0:3], v23, s[18:19] scale_offset
.LBB2_5:
	s_wait_xcnt 0x0
	s_or_b32 exec_lo, exec_lo, s5
	s_wait_loadcnt_dscnt 0x0
	v_cmp_gt_f64_e32 vcc_lo, 0, v[0:1]
	v_lshl_add_u32 v4, v23, 4, 16
	v_xor_b32_e32 v5, 0x80000000, v1
	v_xor_b32_e32 v6, 0x80000000, v3
	v_lshl_add_u32 v7, v23, 2, s31
	ds_store_2addr_b64 v4, v[0:1], v[2:3] offset1:1
	v_cndmask_b32_e32 v1, v1, v5, vcc_lo
	v_cmp_gt_f64_e32 vcc_lo, 0, v[2:3]
	v_cndmask_b32_e32 v3, v3, v6, vcc_lo
	s_delay_alu instid0(VALU_DEP_1)
	v_add_f64_e32 v[12:13], v[0:1], v[2:3]
	v_lshl_add_u32 v0, v23, 3, s22
	ds_store_b64 v0, v[12:13]
	ds_store_b32 v7, v23
.LBB2_6:
	s_or_b32 exec_lo, exec_lo, s4
	s_clause 0x1
	s_load_b256 s[4:11], s[0:1], 0x28
	s_load_b32 s23, s[0:1], 0x4c
	s_cmp_lt_i32 s17, 1
	s_cbranch_scc1 .LBB2_54
; %bb.7:
	s_wait_kmcnt 0x0
	s_mul_u64 s[8:9], s[8:9], s[12:13]
	s_load_b32 s13, s[0:1], 0x18
	v_dual_add_nc_u32 v29, 2, v22 :: v_dual_mov_b32 v9, 0
	v_dual_lshlrev_b32 v8, 2, v23 :: v_dual_bitop2_b32 v0, v23, v22 bitop3:0x54
	s_wait_xcnt 0x0
	s_lshl_b64 s[0:1], s[8:9], 2
	v_lshlrev_b32_e32 v1, 4, v23
	s_add_nc_u64 s[0:1], s[4:5], s[0:1]
	s_lshl_b64 s[4:5], s[6:7], 2
	v_add_nc_u32_e32 v25, s31, v8
	s_add_nc_u64 s[6:7], s[0:1], s[4:5]
	v_cmp_eq_u32_e64 s0, 0, v0
	v_dual_mov_b32 v31, s31 :: v_dual_lshlrev_b32 v0, 4, v22
	v_cmp_gt_u32_e32 vcc_lo, s17, v23
	v_add_nc_u64_e32 v[10:11], s[14:15], v[8:9]
	v_mov_b64_e32 v[14:15], 0
	s_lshr_b32 s24, s3, 16
	s_lshr_b32 s25, s26, 1
	v_lshl_add_u32 v24, v23, 3, s22
	s_wait_kmcnt 0x0
	v_mul_lo_u32 v27, s13, v23
	v_mad_u32 v30, s13, v29, v23
	v_dual_add_nc_u32 v26, 16, v1 :: v_dual_add_nc_u32 v28, s21, v1
	v_cmp_gt_i32_e64 s1, s16, v23
	v_cmp_le_i32_e64 s3, s16, v23
	v_add3_u32 v8, s21, v0, 32
	s_cmp_gt_u32 s26, 1
	s_mov_b32 s8, 0
	s_cselect_b32 s26, -1, 0
	s_add_co_i32 s27, s23, 1
	s_and_b32 s28, s2, vcc_lo
	s_add_co_i32 s29, s17, -1
	s_mul_i32 s30, s13, s24
	s_lshl_b32 s31, s24, 4
	s_mov_b32 s16, 0
	s_mov_b32 s33, 0
	s_branch .LBB2_9
.LBB2_8:                                ;   in Loop: Header=BB2_9 Depth=1
	s_or_b32 exec_lo, exec_lo, s4
	v_dual_add_nc_u32 v30, s13, v30 :: v_dual_add_nc_u32 v8, 16, v8
	s_add_co_i32 s33, s33, 1
	s_delay_alu instid0(SALU_CYCLE_1)
	s_cmp_eq_u32 s33, s17
	s_cbranch_scc1 .LBB2_55
.LBB2_9:                                ; =>This Loop Header: Depth=1
                                        ;     Child Loop BB2_16 Depth 2
                                        ;     Child Loop BB2_48 Depth 2
	v_mov_b32_e32 v2, v23
	s_and_not1_b32 vcc_lo, exec_lo, s26
	s_mov_b32 s5, s25
	s_wait_dscnt 0x0
	s_barrier_signal -1
	s_barrier_wait -1
	s_cbranch_vccnz .LBB2_18
; %bb.10:                               ;   in Loop: Header=BB2_9 Depth=1
	v_cmp_gt_u32_e32 vcc_lo, s5, v23
	s_and_b32 s4, s2, vcc_lo
	s_delay_alu instid0(SALU_CYCLE_1)
	s_and_saveexec_b32 s9, s4
	s_cbranch_execz .LBB2_16
.LBB2_11:                               ;   in Loop: Header=BB2_9 Depth=1
	v_lshl_add_u32 v0, s5, 3, v24
	v_lshl_add_u32 v3, s5, 2, v25
	s_mov_b32 s35, exec_lo
	ds_load_b64 v[0:1], v0
	ds_load_b32 v3, v3
	s_wait_dscnt 0x1
	v_cmp_lt_f64_e64 s34, v[12:13], v[0:1]
	v_cmpx_nlt_f64_e32 v[12:13], v[0:1]
	s_cbranch_execz .LBB2_13
; %bb.12:                               ;   in Loop: Header=BB2_9 Depth=1
	v_cmp_eq_f64_e32 vcc_lo, v[12:13], v[0:1]
	s_wait_dscnt 0x0
	v_cmp_gt_i32_e64 s4, v2, v3
	s_and_not1_b32 s34, s34, exec_lo
	s_and_b32 s4, vcc_lo, s4
	s_delay_alu instid0(SALU_CYCLE_1) | instskip(NEXT) | instid1(SALU_CYCLE_1)
	s_and_b32 s4, s4, exec_lo
	s_or_b32 s34, s34, s4
.LBB2_13:                               ;   in Loop: Header=BB2_9 Depth=1
	s_or_b32 exec_lo, exec_lo, s35
	s_and_saveexec_b32 s4, s34
	s_cbranch_execz .LBB2_15
; %bb.14:                               ;   in Loop: Header=BB2_9 Depth=1
	v_mov_b64_e32 v[12:13], v[0:1]
	s_wait_dscnt 0x0
	v_mov_b32_e32 v2, v3
	ds_store_b64 v24, v[0:1]
	ds_store_b32 v25, v3
.LBB2_15:                               ;   in Loop: Header=BB2_9 Depth=1
	s_or_b32 exec_lo, exec_lo, s4
.LBB2_16:                               ;   Parent Loop BB2_9 Depth=1
                                        ; =>  This Inner Loop Header: Depth=2
	s_delay_alu instid0(SALU_CYCLE_1)
	s_or_b32 exec_lo, exec_lo, s9
	s_lshr_b32 s4, s5, 1
	s_cmp_lt_u32 s5, 2
	s_wait_dscnt 0x0
	s_barrier_signal -1
	s_barrier_wait -1
	s_cbranch_scc1 .LBB2_18
; %bb.17:                               ;   in Loop: Header=BB2_16 Depth=2
	s_mov_b32 s5, s4
	s_delay_alu instid0(SALU_CYCLE_1) | instskip(SKIP_1) | instid1(SALU_CYCLE_1)
	v_cmp_gt_u32_e32 vcc_lo, s5, v23
	s_and_b32 s4, s2, vcc_lo
	s_and_saveexec_b32 s9, s4
	s_cbranch_execnz .LBB2_11
	s_branch .LBB2_16
.LBB2_18:                               ;   in Loop: Header=BB2_9 Depth=1
	ds_load_b32 v0, v31
	s_wait_dscnt 0x0
	v_lshlrev_b32_e32 v1, 4, v0
	v_readfirstlane_b32 s9, v0
	s_delay_alu instid0(VALU_DEP_2)
	v_add_nc_u32_e32 v1, 16, v1
	ds_load_2addr_b64 v[4:7], v1 offset1:1
	s_wait_dscnt 0x0
	v_cmp_eq_f64_e32 vcc_lo, 0, v[4:5]
	v_cmp_eq_f64_e64 s4, 0, v[6:7]
	s_and_b32 s4, vcc_lo, s4
	s_delay_alu instid0(SALU_CYCLE_1)
	s_and_not1_b32 vcc_lo, exec_lo, s4
	s_cbranch_vccz .LBB2_21
; %bb.19:                               ;   in Loop: Header=BB2_9 Depth=1
	v_cmp_ngt_f64_e64 s4, |v[4:5]|, |v[6:7]|
	s_and_b32 vcc_lo, exec_lo, s4
	s_cbranch_vccz .LBB2_22
; %bb.20:                               ;   in Loop: Header=BB2_9 Depth=1
	v_div_scale_f64 v[0:1], null, v[6:7], v[6:7], v[4:5]
	v_div_scale_f64 v[18:19], vcc_lo, v[4:5], v[6:7], v[4:5]
	s_delay_alu instid0(VALU_DEP_2) | instskip(SKIP_1) | instid1(TRANS32_DEP_1)
	v_rcp_f64_e32 v[2:3], v[0:1]
	v_nop
	v_fma_f64 v[16:17], -v[0:1], v[2:3], 1.0
	s_delay_alu instid0(VALU_DEP_1) | instskip(NEXT) | instid1(VALU_DEP_1)
	v_fmac_f64_e32 v[2:3], v[2:3], v[16:17]
	v_fma_f64 v[16:17], -v[0:1], v[2:3], 1.0
	s_delay_alu instid0(VALU_DEP_1) | instskip(NEXT) | instid1(VALU_DEP_1)
	v_fmac_f64_e32 v[2:3], v[2:3], v[16:17]
	v_mul_f64_e32 v[16:17], v[18:19], v[2:3]
	s_delay_alu instid0(VALU_DEP_1) | instskip(NEXT) | instid1(VALU_DEP_1)
	v_fma_f64 v[0:1], -v[0:1], v[16:17], v[18:19]
	v_div_fmas_f64 v[0:1], v[0:1], v[2:3], v[16:17]
	s_delay_alu instid0(VALU_DEP_1) | instskip(NEXT) | instid1(VALU_DEP_1)
	v_div_fixup_f64 v[0:1], v[0:1], v[6:7], v[4:5]
	v_fma_f64 v[2:3], v[4:5], v[0:1], v[6:7]
	s_delay_alu instid0(VALU_DEP_1) | instskip(NEXT) | instid1(VALU_DEP_1)
	v_div_scale_f64 v[16:17], null, v[2:3], v[2:3], 1.0
	v_rcp_f64_e32 v[18:19], v[16:17]
	v_nop
	s_delay_alu instid0(TRANS32_DEP_1) | instskip(NEXT) | instid1(VALU_DEP_1)
	v_fma_f64 v[20:21], -v[16:17], v[18:19], 1.0
	v_fmac_f64_e32 v[18:19], v[18:19], v[20:21]
	s_delay_alu instid0(VALU_DEP_1) | instskip(NEXT) | instid1(VALU_DEP_1)
	v_fma_f64 v[20:21], -v[16:17], v[18:19], 1.0
	v_fmac_f64_e32 v[18:19], v[18:19], v[20:21]
	v_div_scale_f64 v[20:21], vcc_lo, 1.0, v[2:3], 1.0
	s_delay_alu instid0(VALU_DEP_1) | instskip(NEXT) | instid1(VALU_DEP_1)
	v_mul_f64_e32 v[32:33], v[20:21], v[18:19]
	v_fma_f64 v[16:17], -v[16:17], v[32:33], v[20:21]
	s_delay_alu instid0(VALU_DEP_1) | instskip(NEXT) | instid1(VALU_DEP_1)
	v_div_fmas_f64 v[16:17], v[16:17], v[18:19], v[32:33]
	v_div_fixup_f64 v[2:3], v[16:17], v[2:3], 1.0
	s_delay_alu instid0(VALU_DEP_1)
	v_mul_f64_e32 v[0:1], v[0:1], v[2:3]
	v_xor_b32_e32 v3, 0x80000000, v3
	s_cbranch_execz .LBB2_23
	s_branch .LBB2_24
.LBB2_21:                               ;   in Loop: Header=BB2_9 Depth=1
                                        ; implicit-def: $vgpr2_vgpr3
	s_branch .LBB2_25
.LBB2_22:                               ;   in Loop: Header=BB2_9 Depth=1
                                        ; implicit-def: $vgpr2_vgpr3
.LBB2_23:                               ;   in Loop: Header=BB2_9 Depth=1
	v_div_scale_f64 v[0:1], null, v[4:5], v[4:5], v[6:7]
	v_div_scale_f64 v[18:19], vcc_lo, v[6:7], v[4:5], v[6:7]
	s_delay_alu instid0(VALU_DEP_2) | instskip(SKIP_1) | instid1(TRANS32_DEP_1)
	v_rcp_f64_e32 v[2:3], v[0:1]
	v_nop
	v_fma_f64 v[16:17], -v[0:1], v[2:3], 1.0
	s_delay_alu instid0(VALU_DEP_1) | instskip(NEXT) | instid1(VALU_DEP_1)
	v_fmac_f64_e32 v[2:3], v[2:3], v[16:17]
	v_fma_f64 v[16:17], -v[0:1], v[2:3], 1.0
	s_delay_alu instid0(VALU_DEP_1) | instskip(NEXT) | instid1(VALU_DEP_1)
	v_fmac_f64_e32 v[2:3], v[2:3], v[16:17]
	v_mul_f64_e32 v[16:17], v[18:19], v[2:3]
	s_delay_alu instid0(VALU_DEP_1) | instskip(NEXT) | instid1(VALU_DEP_1)
	v_fma_f64 v[0:1], -v[0:1], v[16:17], v[18:19]
	v_div_fmas_f64 v[0:1], v[0:1], v[2:3], v[16:17]
	s_delay_alu instid0(VALU_DEP_1) | instskip(NEXT) | instid1(VALU_DEP_1)
	v_div_fixup_f64 v[2:3], v[0:1], v[4:5], v[6:7]
	v_fma_f64 v[0:1], v[6:7], v[2:3], v[4:5]
	s_delay_alu instid0(VALU_DEP_1) | instskip(NEXT) | instid1(VALU_DEP_1)
	v_div_scale_f64 v[16:17], null, v[0:1], v[0:1], 1.0
	v_rcp_f64_e32 v[18:19], v[16:17]
	v_nop
	s_delay_alu instid0(TRANS32_DEP_1) | instskip(NEXT) | instid1(VALU_DEP_1)
	v_fma_f64 v[20:21], -v[16:17], v[18:19], 1.0
	v_fmac_f64_e32 v[18:19], v[18:19], v[20:21]
	s_delay_alu instid0(VALU_DEP_1) | instskip(NEXT) | instid1(VALU_DEP_1)
	v_fma_f64 v[20:21], -v[16:17], v[18:19], 1.0
	v_fmac_f64_e32 v[18:19], v[18:19], v[20:21]
	v_div_scale_f64 v[20:21], vcc_lo, 1.0, v[0:1], 1.0
	s_delay_alu instid0(VALU_DEP_1) | instskip(NEXT) | instid1(VALU_DEP_1)
	v_mul_f64_e32 v[32:33], v[20:21], v[18:19]
	v_fma_f64 v[16:17], -v[16:17], v[32:33], v[20:21]
	s_delay_alu instid0(VALU_DEP_1) | instskip(NEXT) | instid1(VALU_DEP_1)
	v_div_fmas_f64 v[16:17], v[16:17], v[18:19], v[32:33]
	v_div_fixup_f64 v[0:1], v[16:17], v[0:1], 1.0
	s_delay_alu instid0(VALU_DEP_1)
	v_mul_f64_e64 v[2:3], v[2:3], -v[0:1]
.LBB2_24:                               ;   in Loop: Header=BB2_9 Depth=1
	s_cbranch_execnz .LBB2_26
.LBB2_25:                               ;   in Loop: Header=BB2_9 Depth=1
	v_mov_b64_e32 v[0:1], v[4:5]
	v_mov_b64_e32 v[2:3], v[6:7]
	s_add_co_i32 s4, s33, 1
	s_cmp_eq_u32 s16, 0
	s_mov_b32 s9, s33
	s_cselect_b32 s16, s4, s16
.LBB2_26:                               ;   in Loop: Header=BB2_9 Depth=1
	s_and_saveexec_b32 s4, s0
	s_cbranch_execz .LBB2_28
; %bb.27:                               ;   in Loop: Header=BB2_9 Depth=1
	s_add_co_i32 s5, s27, s9
	s_delay_alu instid0(SALU_CYCLE_1)
	v_dual_mov_b32 v4, s33 :: v_dual_mov_b32 v5, s5
	global_store_b32 v4, v5, s[6:7] scale_offset
.LBB2_28:                               ;   in Loop: Header=BB2_9 Depth=1
	s_wait_xcnt 0x0
	s_or_b32 exec_lo, exec_lo, s4
	s_delay_alu instid0(SALU_CYCLE_1)
	s_mov_b32 s5, exec_lo
	v_cmp_eq_u32_e32 vcc_lo, s9, v23
	v_cmpx_ne_u32_e64 s9, v23
	s_cbranch_execz .LBB2_32
; %bb.29:                               ;   in Loop: Header=BB2_9 Depth=1
	ds_load_2addr_b64 v[16:19], v26 offset1:1
	v_cmp_le_u32_e64 s4, s33, v23
	s_and_b32 s4, s2, s4
	s_delay_alu instid0(SALU_CYCLE_1) | instskip(SKIP_3) | instid1(VALU_DEP_2)
	s_and_b32 s34, s1, s4
	s_wait_dscnt 0x0
	v_mul_f64_e32 v[4:5], v[2:3], v[18:19]
	v_mul_f64_e32 v[6:7], v[0:1], v[18:19]
	v_fma_f64 v[4:5], v[0:1], v[16:17], -v[4:5]
	s_delay_alu instid0(VALU_DEP_2)
	v_fmac_f64_e32 v[6:7], v[2:3], v[16:17]
	s_and_saveexec_b32 s4, s34
	s_cbranch_execz .LBB2_31
; %bb.30:                               ;   in Loop: Header=BB2_9 Depth=1
	v_mad_u32 v0, s33, s13, v23
	flat_store_b128 v0, v[4:7], s[18:19] scale_offset
.LBB2_31:                               ;   in Loop: Header=BB2_9 Depth=1
	s_wait_xcnt 0x0
	s_or_b32 exec_lo, exec_lo, s4
	s_delay_alu instid0(VALU_DEP_2) | instskip(NEXT) | instid1(VALU_DEP_2)
	v_mov_b64_e32 v[0:1], v[4:5]
	v_mov_b64_e32 v[2:3], v[6:7]
.LBB2_32:                               ;   in Loop: Header=BB2_9 Depth=1
	s_or_b32 exec_lo, exec_lo, s5
	v_add_nc_u32_e32 v32, s9, v27
	s_and_saveexec_b32 s5, s28
	s_cbranch_execz .LBB2_35
; %bb.33:                               ;   in Loop: Header=BB2_9 Depth=1
	flat_load_b128 v[4:7], v32, s[18:19] scale_offset
	v_cmp_eq_u32_e64 s4, s33, v23
	s_wait_loadcnt_dscnt 0x0
	ds_store_2addr_b64 v28, v[4:5], v[6:7] offset1:1
	s_wait_xcnt 0x0
	s_and_b32 exec_lo, exec_lo, s4
; %bb.34:                               ;   in Loop: Header=BB2_9 Depth=1
	ds_store_b128 v9, v[0:3]
.LBB2_35:                               ;   in Loop: Header=BB2_9 Depth=1
	s_or_b32 exec_lo, exec_lo, s5
	s_cmp_lg_u32 s9, s33
	s_wait_storecnt_dscnt 0x0
	s_cselect_b32 s4, -1, 0
	s_barrier_signal -1
	s_and_b32 s4, s28, s4
	s_barrier_wait -1
	s_and_saveexec_b32 s34, s4
	s_cbranch_execz .LBB2_43
; %bb.36:                               ;   in Loop: Header=BB2_9 Depth=1
	v_add_nc_u32_e32 v4, s33, v27
	s_mov_b64 s[4:5], src_shared_base
	v_cmp_ne_u32_e64 s4, s33, v23
	v_mov_b64_e32 v[18:19], 0
	v_mov_b64_e32 v[20:21], 0
	v_ashrrev_i32_e32 v5, 31, v4
	s_mov_b32 s35, exec_lo
	s_delay_alu instid0(VALU_DEP_1) | instskip(NEXT) | instid1(VALU_DEP_1)
	v_lshl_add_u64 v[16:17], v[4:5], 4, s[18:19]
	v_cndmask_b32_e64 v5, s5, v17, s4
	s_delay_alu instid0(VALU_DEP_2)
	v_cndmask_b32_e64 v4, 0, v16, s4
	flat_load_b128 v[4:7], v[4:5]
	s_wait_xcnt 0x0
	v_cmpx_lt_u32_e64 s33, v23
	s_cbranch_execz .LBB2_38
; %bb.37:                               ;   in Loop: Header=BB2_9 Depth=1
	ds_load_2addr_b64 v[34:37], v28 offset1:1
	ds_load_b128 v[38:41], v9
	s_wait_dscnt 0x0
	v_mul_f64_e32 v[20:21], v[36:37], v[40:41]
	v_mul_f64_e32 v[18:19], v[34:35], v[40:41]
	s_delay_alu instid0(VALU_DEP_2) | instskip(NEXT) | instid1(VALU_DEP_2)
	v_fma_f64 v[20:21], v[34:35], v[38:39], -v[20:21]
	v_fmac_f64_e32 v[18:19], v[36:37], v[38:39]
.LBB2_38:                               ;   in Loop: Header=BB2_9 Depth=1
	s_or_b32 exec_lo, exec_lo, s35
	s_wait_loadcnt_dscnt 0x0
	s_delay_alu instid0(VALU_DEP_2) | instskip(NEXT) | instid1(VALU_DEP_2)
	v_add_f64_e64 v[4:5], v[4:5], -v[20:21]
	v_add_f64_e64 v[6:7], v[6:7], -v[18:19]
	s_add_co_i32 s5, s33, 1
	s_mov_b32 s35, exec_lo
	flat_store_b128 v32, v[4:7], s[18:19] scale_offset
	ds_load_2addr_b64 v[18:21], v28 offset1:1
	s_wait_dscnt 0x0
	flat_store_b128 v[16:17], v[18:21]
	s_wait_xcnt 0x0
	v_cmpx_eq_u32_e64 s5, v23
	s_cbranch_execz .LBB2_40
; %bb.39:                               ;   in Loop: Header=BB2_9 Depth=1
	s_lshl_b32 s5, s9, 4
	v_xor_b32_e32 v13, 0x80000000, v5
	s_add_co_i32 s5, s5, 16
	v_xor_b32_e32 v16, 0x80000000, v7
	v_mov_b32_e32 v12, s5
	v_cmp_gt_f64_e64 s5, 0, v[4:5]
	ds_store_2addr_b64 v12, v[4:5], v[6:7] offset1:1
	v_cndmask_b32_e64 v5, v5, v13, s5
	v_cmp_gt_f64_e64 s5, 0, v[6:7]
	s_delay_alu instid0(VALU_DEP_1) | instskip(SKIP_1) | instid1(SALU_CYCLE_1)
	v_cndmask_b32_e64 v7, v7, v16, s5
	s_lshl_b32 s5, s9, 3
	s_add_co_i32 s5, s22, s5
	s_delay_alu instid0(VALU_DEP_1) | instid1(SALU_CYCLE_1)
	v_dual_add_f64 v[12:13], v[6:7], v[4:5] :: v_dual_mov_b32 v4, s5
	ds_store_b64 v4, v[12:13]
.LBB2_40:                               ;   in Loop: Header=BB2_9 Depth=1
	s_or_b32 exec_lo, exec_lo, s35
	s_nor_b32 s5, s20, s4
	s_delay_alu instid0(SALU_CYCLE_1)
	s_and_saveexec_b32 s4, s5
	s_cbranch_execz .LBB2_42
; %bb.41:                               ;   in Loop: Header=BB2_9 Depth=1
	v_mov_b32_e32 v4, s9
	s_clause 0x1
	global_load_b32 v5, v4, s[14:15] scale_offset
	global_load_b32 v6, v[10:11], off
	s_wait_loadcnt 0x1
	global_store_b32 v[10:11], v5, off
	s_wait_loadcnt 0x0
	global_store_b32 v4, v6, s[14:15] scale_offset
.LBB2_42:                               ;   in Loop: Header=BB2_9 Depth=1
	s_wait_xcnt 0x0
	s_or_b32 exec_lo, exec_lo, s4
.LBB2_43:                               ;   in Loop: Header=BB2_9 Depth=1
	s_delay_alu instid0(SALU_CYCLE_1) | instskip(SKIP_2) | instid1(SALU_CYCLE_1)
	s_or_b32 exec_lo, exec_lo, s34
	v_cmp_ge_u32_e64 s4, s33, v23
	s_or_b32 s5, s3, s4
	s_nor_b32 s9, s5, vcc_lo
	s_delay_alu instid0(SALU_CYCLE_1)
	s_and_saveexec_b32 s5, s9
	s_cbranch_execnz .LBB2_46
; %bb.44:                               ;   in Loop: Header=BB2_9 Depth=1
	s_or_b32 exec_lo, exec_lo, s5
	s_and_b32 s5, s2, s4
	s_delay_alu instid0(SALU_CYCLE_1)
	s_and_saveexec_b32 s4, s5
	s_cbranch_execnz .LBB2_52
.LBB2_45:                               ;   in Loop: Header=BB2_9 Depth=1
	s_or_b32 exec_lo, exec_lo, s4
	s_and_saveexec_b32 s4, s2
	s_cbranch_execz .LBB2_8
	s_branch .LBB2_53
.LBB2_46:                               ;   in Loop: Header=BB2_9 Depth=1
	v_add_nc_u32_e32 v4, s33, v29
	s_mov_b32 s9, exec_lo
	s_delay_alu instid0(VALU_DEP_1)
	v_cmpx_gt_i32_e64 s17, v4
	s_cbranch_execz .LBB2_49
; %bb.47:                               ;   in Loop: Header=BB2_9 Depth=1
	v_dual_mov_b32 v5, v8 :: v_dual_mov_b32 v6, v30
	s_mov_b32 s34, 0
.LBB2_48:                               ;   Parent Loop BB2_9 Depth=1
                                        ; =>  This Inner Loop Header: Depth=2
	flat_load_b128 v[16:19], v6, s[18:19] scale_offset
	ds_load_2addr_b64 v[32:35], v5 offset1:1
	v_dual_add_nc_u32 v4, s24, v4 :: v_dual_add_nc_u32 v5, s31, v5
	s_delay_alu instid0(VALU_DEP_1) | instskip(SKIP_4) | instid1(VALU_DEP_2)
	v_cmp_le_i32_e32 vcc_lo, s17, v4
	s_or_b32 s34, vcc_lo, s34
	s_wait_dscnt 0x0
	v_mul_f64_e32 v[20:21], v[2:3], v[34:35]
	v_mul_f64_e32 v[34:35], v[0:1], v[34:35]
	v_fma_f64 v[20:21], v[0:1], v[32:33], -v[20:21]
	s_delay_alu instid0(VALU_DEP_2) | instskip(SKIP_1) | instid1(VALU_DEP_2)
	v_fmac_f64_e32 v[34:35], v[2:3], v[32:33]
	s_wait_loadcnt 0x0
	v_add_f64_e64 v[16:17], v[16:17], -v[20:21]
	s_delay_alu instid0(VALU_DEP_2)
	v_add_f64_e64 v[18:19], v[18:19], -v[34:35]
	flat_store_b128 v6, v[16:19], s[18:19] scale_offset
	s_wait_xcnt 0x0
	v_add_nc_u32_e32 v6, s30, v6
	s_and_not1_b32 exec_lo, exec_lo, s34
	s_cbranch_execnz .LBB2_48
.LBB2_49:                               ;   in Loop: Header=BB2_9 Depth=1
	s_or_b32 exec_lo, exec_lo, s9
	s_cmp_lt_i32 s33, s29
	s_cselect_b32 s9, -1, 0
	s_delay_alu instid0(SALU_CYCLE_1) | instskip(NEXT) | instid1(SALU_CYCLE_1)
	s_and_b32 s34, s2, s9
	s_and_saveexec_b32 s9, s34
	s_cbranch_execz .LBB2_51
; %bb.50:                               ;   in Loop: Header=BB2_9 Depth=1
	s_add_co_i32 s34, s33, 1
	s_delay_alu instid0(SALU_CYCLE_1) | instskip(SKIP_1) | instid1(SALU_CYCLE_1)
	v_mad_u32 v20, s34, s13, v23
	s_lshl_b32 s34, s33, 4
	s_add_co_i32 s34, s21, s34
	s_delay_alu instid0(SALU_CYCLE_1)
	v_mov_b32_e32 v12, s34
	ds_load_2addr_b64 v[16:19], v12 offset0:2 offset1:3
	flat_load_b128 v[4:7], v20, s[18:19] scale_offset
	s_wait_dscnt 0x1
	v_mul_f64_e32 v[12:13], v[2:3], v[18:19]
	v_mul_f64_e32 v[18:19], v[0:1], v[18:19]
	s_delay_alu instid0(VALU_DEP_2) | instskip(NEXT) | instid1(VALU_DEP_2)
	v_fma_f64 v[0:1], v[0:1], v[16:17], -v[12:13]
	v_fmac_f64_e32 v[18:19], v[2:3], v[16:17]
	s_wait_loadcnt_dscnt 0x0
	s_delay_alu instid0(VALU_DEP_2) | instskip(NEXT) | instid1(VALU_DEP_2)
	v_add_f64_e64 v[0:1], v[4:5], -v[0:1]
	v_add_f64_e64 v[2:3], v[6:7], -v[18:19]
	s_delay_alu instid0(VALU_DEP_2)
	v_cmp_gt_f64_e32 vcc_lo, 0, v[0:1]
	v_xor_b32_e32 v4, 0x80000000, v1
	flat_store_b128 v20, v[0:3], s[18:19] scale_offset
	ds_store_2addr_b64 v26, v[0:1], v[2:3] offset1:1
	v_xor_b32_e32 v5, 0x80000000, v3
	s_wait_xcnt 0x0
	v_cndmask_b32_e32 v1, v1, v4, vcc_lo
	v_cmp_gt_f64_e32 vcc_lo, 0, v[2:3]
	s_delay_alu instid0(VALU_DEP_3) | instskip(NEXT) | instid1(VALU_DEP_1)
	v_cndmask_b32_e32 v3, v3, v5, vcc_lo
	v_add_f64_e32 v[12:13], v[0:1], v[2:3]
	ds_store_b64 v24, v[12:13]
.LBB2_51:                               ;   in Loop: Header=BB2_9 Depth=1
	s_or_b32 exec_lo, exec_lo, s9
	s_delay_alu instid0(SALU_CYCLE_1) | instskip(SKIP_1) | instid1(SALU_CYCLE_1)
	s_or_b32 exec_lo, exec_lo, s5
	s_and_b32 s5, s2, s4
	s_and_saveexec_b32 s4, s5
	s_cbranch_execz .LBB2_45
.LBB2_52:                               ;   in Loop: Header=BB2_9 Depth=1
	s_mov_b32 s9, s8
	s_mov_b32 s34, s8
	;; [unrolled: 1-line block ×3, first 2 shown]
	v_mov_b64_e32 v[0:1], s[8:9]
	v_mov_b64_e32 v[12:13], 0
	;; [unrolled: 1-line block ×3, first 2 shown]
	ds_store_2addr_b64 v26, v[0:1], v[2:3] offset1:1
	ds_store_b64 v24, v[14:15]
	s_or_b32 exec_lo, exec_lo, s4
	s_and_saveexec_b32 s4, s2
	s_cbranch_execz .LBB2_8
.LBB2_53:                               ;   in Loop: Header=BB2_9 Depth=1
	ds_store_b32 v25, v23
	s_branch .LBB2_8
.LBB2_54:
	s_mov_b32 s16, 0
.LBB2_55:
	s_wait_xcnt 0x0
	s_mov_b32 s1, 0
	s_mov_b32 s0, exec_lo
	v_cmpx_eq_u32_e32 0, v23
	s_cbranch_execz .LBB2_58
; %bb.56:
	v_mov_b32_e32 v0, s12
	s_cmp_gt_i32 s16, 0
	s_cselect_b32 s0, -1, 0
	s_wait_kmcnt 0x0
	global_load_b32 v0, v0, s[10:11] scale_offset
	s_wait_loadcnt 0x0
	v_or_b32_e32 v0, v0, v22
	s_delay_alu instid0(VALU_DEP_1) | instskip(SKIP_1) | instid1(SALU_CYCLE_1)
	v_cmp_eq_u32_e32 vcc_lo, 0, v0
	s_and_b32 s0, vcc_lo, s0
	s_and_b32 exec_lo, exec_lo, s0
	s_cbranch_execz .LBB2_58
; %bb.57:
	s_add_co_i32 s0, s16, s23
	s_delay_alu instid0(SALU_CYCLE_1) | instskip(SKIP_1) | instid1(SALU_CYCLE_1)
	v_dual_mov_b32 v0, 0 :: v_dual_mov_b32 v1, s0
	s_lshl_b32 s0, s12, 2
	s_add_nc_u64 s[0:1], s[10:11], s[0:1]
	global_store_b32 v0, v1, s[0:1]
.LBB2_58:
	s_endpgm
	.section	.rodata,"a",@progbits
	.p2align	6, 0x0
	.amdhsa_kernel _ZN9rocsolver6v33100L18getf2_panel_kernelI19rocblas_complex_numIdEiiPKPS3_EEvT0_S7_T2_lS7_lPS7_llPT1_S7_S7_S9_l
		.amdhsa_group_segment_fixed_size 16
		.amdhsa_private_segment_fixed_size 0
		.amdhsa_kernarg_size 352
		.amdhsa_user_sgpr_count 2
		.amdhsa_user_sgpr_dispatch_ptr 0
		.amdhsa_user_sgpr_queue_ptr 0
		.amdhsa_user_sgpr_kernarg_segment_ptr 1
		.amdhsa_user_sgpr_dispatch_id 0
		.amdhsa_user_sgpr_kernarg_preload_length 0
		.amdhsa_user_sgpr_kernarg_preload_offset 0
		.amdhsa_user_sgpr_private_segment_size 0
		.amdhsa_wavefront_size32 1
		.amdhsa_uses_dynamic_stack 0
		.amdhsa_enable_private_segment 0
		.amdhsa_system_sgpr_workgroup_id_x 1
		.amdhsa_system_sgpr_workgroup_id_y 0
		.amdhsa_system_sgpr_workgroup_id_z 1
		.amdhsa_system_sgpr_workgroup_info 0
		.amdhsa_system_vgpr_workitem_id 1
		.amdhsa_next_free_vgpr 42
		.amdhsa_next_free_sgpr 36
		.amdhsa_named_barrier_count 0
		.amdhsa_reserve_vcc 1
		.amdhsa_float_round_mode_32 0
		.amdhsa_float_round_mode_16_64 0
		.amdhsa_float_denorm_mode_32 3
		.amdhsa_float_denorm_mode_16_64 3
		.amdhsa_fp16_overflow 0
		.amdhsa_memory_ordered 1
		.amdhsa_forward_progress 1
		.amdhsa_inst_pref_size 22
		.amdhsa_round_robin_scheduling 0
		.amdhsa_exception_fp_ieee_invalid_op 0
		.amdhsa_exception_fp_denorm_src 0
		.amdhsa_exception_fp_ieee_div_zero 0
		.amdhsa_exception_fp_ieee_overflow 0
		.amdhsa_exception_fp_ieee_underflow 0
		.amdhsa_exception_fp_ieee_inexact 0
		.amdhsa_exception_int_div_zero 0
	.end_amdhsa_kernel
	.section	.text._ZN9rocsolver6v33100L18getf2_panel_kernelI19rocblas_complex_numIdEiiPKPS3_EEvT0_S7_T2_lS7_lPS7_llPT1_S7_S7_S9_l,"axG",@progbits,_ZN9rocsolver6v33100L18getf2_panel_kernelI19rocblas_complex_numIdEiiPKPS3_EEvT0_S7_T2_lS7_lPS7_llPT1_S7_S7_S9_l,comdat
.Lfunc_end2:
	.size	_ZN9rocsolver6v33100L18getf2_panel_kernelI19rocblas_complex_numIdEiiPKPS3_EEvT0_S7_T2_lS7_lPS7_llPT1_S7_S7_S9_l, .Lfunc_end2-_ZN9rocsolver6v33100L18getf2_panel_kernelI19rocblas_complex_numIdEiiPKPS3_EEvT0_S7_T2_lS7_lPS7_llPT1_S7_S7_S9_l
                                        ; -- End function
	.set _ZN9rocsolver6v33100L18getf2_panel_kernelI19rocblas_complex_numIdEiiPKPS3_EEvT0_S7_T2_lS7_lPS7_llPT1_S7_S7_S9_l.num_vgpr, 42
	.set _ZN9rocsolver6v33100L18getf2_panel_kernelI19rocblas_complex_numIdEiiPKPS3_EEvT0_S7_T2_lS7_lPS7_llPT1_S7_S7_S9_l.num_agpr, 0
	.set _ZN9rocsolver6v33100L18getf2_panel_kernelI19rocblas_complex_numIdEiiPKPS3_EEvT0_S7_T2_lS7_lPS7_llPT1_S7_S7_S9_l.numbered_sgpr, 36
	.set _ZN9rocsolver6v33100L18getf2_panel_kernelI19rocblas_complex_numIdEiiPKPS3_EEvT0_S7_T2_lS7_lPS7_llPT1_S7_S7_S9_l.num_named_barrier, 0
	.set _ZN9rocsolver6v33100L18getf2_panel_kernelI19rocblas_complex_numIdEiiPKPS3_EEvT0_S7_T2_lS7_lPS7_llPT1_S7_S7_S9_l.private_seg_size, 0
	.set _ZN9rocsolver6v33100L18getf2_panel_kernelI19rocblas_complex_numIdEiiPKPS3_EEvT0_S7_T2_lS7_lPS7_llPT1_S7_S7_S9_l.uses_vcc, 1
	.set _ZN9rocsolver6v33100L18getf2_panel_kernelI19rocblas_complex_numIdEiiPKPS3_EEvT0_S7_T2_lS7_lPS7_llPT1_S7_S7_S9_l.uses_flat_scratch, 0
	.set _ZN9rocsolver6v33100L18getf2_panel_kernelI19rocblas_complex_numIdEiiPKPS3_EEvT0_S7_T2_lS7_lPS7_llPT1_S7_S7_S9_l.has_dyn_sized_stack, 0
	.set _ZN9rocsolver6v33100L18getf2_panel_kernelI19rocblas_complex_numIdEiiPKPS3_EEvT0_S7_T2_lS7_lPS7_llPT1_S7_S7_S9_l.has_recursion, 0
	.set _ZN9rocsolver6v33100L18getf2_panel_kernelI19rocblas_complex_numIdEiiPKPS3_EEvT0_S7_T2_lS7_lPS7_llPT1_S7_S7_S9_l.has_indirect_call, 0
	.section	.AMDGPU.csdata,"",@progbits
; Kernel info:
; codeLenInByte = 2772
; TotalNumSgprs: 38
; NumVgprs: 42
; ScratchSize: 0
; MemoryBound: 1
; FloatMode: 240
; IeeeMode: 1
; LDSByteSize: 16 bytes/workgroup (compile time only)
; SGPRBlocks: 0
; VGPRBlocks: 2
; NumSGPRsForWavesPerEU: 38
; NumVGPRsForWavesPerEU: 42
; NamedBarCnt: 0
; Occupancy: 16
; WaveLimiterHint : 1
; COMPUTE_PGM_RSRC2:SCRATCH_EN: 0
; COMPUTE_PGM_RSRC2:USER_SGPR: 2
; COMPUTE_PGM_RSRC2:TRAP_HANDLER: 0
; COMPUTE_PGM_RSRC2:TGID_X_EN: 1
; COMPUTE_PGM_RSRC2:TGID_Y_EN: 0
; COMPUTE_PGM_RSRC2:TGID_Z_EN: 1
; COMPUTE_PGM_RSRC2:TIDIG_COMP_CNT: 1
	.section	.text._ZN9rocsolver6v33100L23getf2_npvt_panel_kernelI19rocblas_complex_numIdEiiPKPS3_EEvT0_S7_T2_lS7_lPT1_S7_S7_,"axG",@progbits,_ZN9rocsolver6v33100L23getf2_npvt_panel_kernelI19rocblas_complex_numIdEiiPKPS3_EEvT0_S7_T2_lS7_lPT1_S7_S7_,comdat
	.globl	_ZN9rocsolver6v33100L23getf2_npvt_panel_kernelI19rocblas_complex_numIdEiiPKPS3_EEvT0_S7_T2_lS7_lPT1_S7_S7_ ; -- Begin function _ZN9rocsolver6v33100L23getf2_npvt_panel_kernelI19rocblas_complex_numIdEiiPKPS3_EEvT0_S7_T2_lS7_lPT1_S7_S7_
	.p2align	8
	.type	_ZN9rocsolver6v33100L23getf2_npvt_panel_kernelI19rocblas_complex_numIdEiiPKPS3_EEvT0_S7_T2_lS7_lPT1_S7_S7_,@function
_ZN9rocsolver6v33100L23getf2_npvt_panel_kernelI19rocblas_complex_numIdEiiPKPS3_EEvT0_S7_T2_lS7_lPT1_S7_S7_: ; @_ZN9rocsolver6v33100L23getf2_npvt_panel_kernelI19rocblas_complex_numIdEiiPKPS3_EEvT0_S7_T2_lS7_lPT1_S7_S7_
; %bb.0:
	s_load_b128 s[12:15], s[0:1], 0x8
	s_bfe_u32 s2, ttmp6, 0x40014
	s_lshr_b32 s3, ttmp7, 16
	s_add_co_i32 s2, s2, 1
	s_bfe_u32 s4, ttmp6, 0x40008
	s_mul_i32 s2, s3, s2
	s_getreg_b32 s5, hwreg(HW_REG_IB_STS2, 6, 4)
	s_add_co_i32 s4, s4, s2
	s_cmp_eq_u32 s5, 0
	v_bfe_u32 v8, v0, 10, 10
	s_cselect_b32 s10, s3, s4
	v_and_b32_e32 v9, 0x3ff, v0
	s_wait_kmcnt 0x0
	s_load_b64 s[6:7], s[12:13], s10 offset:0x0 scale_offset
	s_clause 0x1
	s_load_b64 s[4:5], s[0:1], 0x0
	s_load_b32 s3, s[0:1], 0x44
	v_cmp_eq_u32_e64 s2, 0, v8
	s_lshl_b64 s[8:9], s[14:15], 4
	s_wait_kmcnt 0x0
	s_add_nc_u64 s[6:7], s[6:7], s[8:9]
	s_and_saveexec_b32 s8, s2
	s_cbranch_execz .LBB3_4
; %bb.1:
	v_mov_b64_e32 v[0:1], 0
	v_mov_b64_e32 v[2:3], 0
	s_mov_b32 s9, exec_lo
	v_cmpx_gt_i32_e64 s4, v9
	s_cbranch_execz .LBB3_3
; %bb.2:
	flat_load_b128 v[0:3], v9, s[6:7] scale_offset
.LBB3_3:
	s_wait_xcnt 0x0
	s_or_b32 exec_lo, exec_lo, s9
	v_lshl_add_u32 v4, v9, 4, 0
	s_wait_loadcnt_dscnt 0x0
	ds_store_2addr_b64 v4, v[0:1], v[2:3] offset1:1
.LBB3_4:
	s_or_b32 exec_lo, exec_lo, s8
	s_cmp_lt_i32 s5, 1
	s_cbranch_scc1 .LBB3_29
; %bb.5:
	s_load_b32 s12, s[0:1], 0x18
	v_dual_lshlrev_b32 v0, 4, v9 :: v_dual_add_nc_u32 v10, 2, v8
	s_and_b32 s9, s3, 0xffff
	v_lshlrev_b32_e32 v1, 4, v8
	s_lshr_b32 s13, s3, 16
	v_cmp_gt_i32_e64 s3, s4, v9
	s_lshl_b32 s4, s9, 4
	v_cmp_gt_u32_e32 vcc_lo, s5, v9
	s_add_co_i32 s14, s4, 0
	s_delay_alu instid0(SALU_CYCLE_1)
	v_dual_add_nc_u32 v11, 0, v0 :: v_dual_add_nc_u32 v14, s14, v0
	v_add3_u32 v15, s14, v1, 32
	s_mov_b32 s8, 0
	s_and_b32 s15, s2, vcc_lo
	s_add_co_i32 s16, s5, -1
	s_lshl_b32 s18, s13, 4
	s_mov_b32 s11, 0
	s_mov_b32 s19, 0
	s_wait_kmcnt 0x0
	v_mul_lo_u32 v12, s12, v9
	v_mad_u32 v13, s12, v10, v9
	s_mul_i32 s17, s12, s13
	s_branch .LBB3_7
.LBB3_6:                                ;   in Loop: Header=BB3_7 Depth=1
	s_or_b32 exec_lo, exec_lo, s4
	v_dual_add_nc_u32 v13, s12, v13 :: v_dual_add_nc_u32 v15, 16, v15
	s_add_co_i32 s19, s19, 1
	s_delay_alu instid0(SALU_CYCLE_1)
	s_cmp_eq_u32 s19, s5
	s_cbranch_scc1 .LBB3_30
.LBB3_7:                                ; =>This Loop Header: Depth=1
                                        ;     Child Loop BB3_21 Depth 2
	s_lshl_b32 s9, s19, 4
	s_wait_dscnt 0x0
	s_add_co_i32 s4, s9, 0
	s_barrier_signal -1
	v_mov_b32_e32 v0, s4
	s_barrier_wait -1
	ds_load_2addr_b64 v[0:3], v0 offset1:1
	s_wait_dscnt 0x0
	v_cmp_eq_f64_e32 vcc_lo, 0, v[0:1]
	v_cmp_eq_f64_e64 s4, 0, v[2:3]
	s_and_b32 s4, vcc_lo, s4
	s_cmp_eq_u32 s11, 0
	s_cselect_b32 s20, -1, 0
	s_delay_alu instid0(SALU_CYCLE_1) | instskip(NEXT) | instid1(SALU_CYCLE_1)
	s_and_b32 s4, s4, s20
	s_and_not1_b32 vcc_lo, exec_lo, s4
	s_cbranch_vccz .LBB3_10
; %bb.8:                                ;   in Loop: Header=BB3_7 Depth=1
	v_cmp_ngt_f64_e64 s4, |v[0:1]|, |v[2:3]|
	s_and_b32 vcc_lo, exec_lo, s4
	s_cbranch_vccz .LBB3_11
; %bb.9:                                ;   in Loop: Header=BB3_7 Depth=1
	v_div_scale_f64 v[4:5], null, v[2:3], v[2:3], v[0:1]
	v_div_scale_f64 v[18:19], vcc_lo, v[0:1], v[2:3], v[0:1]
	s_delay_alu instid0(VALU_DEP_2) | instskip(SKIP_1) | instid1(TRANS32_DEP_1)
	v_rcp_f64_e32 v[6:7], v[4:5]
	v_nop
	v_fma_f64 v[16:17], -v[4:5], v[6:7], 1.0
	s_delay_alu instid0(VALU_DEP_1) | instskip(NEXT) | instid1(VALU_DEP_1)
	v_fmac_f64_e32 v[6:7], v[6:7], v[16:17]
	v_fma_f64 v[16:17], -v[4:5], v[6:7], 1.0
	s_delay_alu instid0(VALU_DEP_1) | instskip(NEXT) | instid1(VALU_DEP_1)
	v_fmac_f64_e32 v[6:7], v[6:7], v[16:17]
	v_mul_f64_e32 v[16:17], v[18:19], v[6:7]
	s_delay_alu instid0(VALU_DEP_1) | instskip(NEXT) | instid1(VALU_DEP_1)
	v_fma_f64 v[4:5], -v[4:5], v[16:17], v[18:19]
	v_div_fmas_f64 v[4:5], v[4:5], v[6:7], v[16:17]
	s_delay_alu instid0(VALU_DEP_1) | instskip(NEXT) | instid1(VALU_DEP_1)
	v_div_fixup_f64 v[6:7], v[4:5], v[2:3], v[0:1]
	v_fma_f64 v[4:5], v[0:1], v[6:7], v[2:3]
	s_delay_alu instid0(VALU_DEP_1) | instskip(NEXT) | instid1(VALU_DEP_1)
	v_div_scale_f64 v[16:17], null, v[4:5], v[4:5], 1.0
	v_rcp_f64_e32 v[18:19], v[16:17]
	v_nop
	s_delay_alu instid0(TRANS32_DEP_1) | instskip(NEXT) | instid1(VALU_DEP_1)
	v_fma_f64 v[20:21], -v[16:17], v[18:19], 1.0
	v_fmac_f64_e32 v[18:19], v[18:19], v[20:21]
	s_delay_alu instid0(VALU_DEP_1) | instskip(NEXT) | instid1(VALU_DEP_1)
	v_fma_f64 v[20:21], -v[16:17], v[18:19], 1.0
	v_fmac_f64_e32 v[18:19], v[18:19], v[20:21]
	v_div_scale_f64 v[20:21], vcc_lo, 1.0, v[4:5], 1.0
	s_delay_alu instid0(VALU_DEP_1) | instskip(NEXT) | instid1(VALU_DEP_1)
	v_mul_f64_e32 v[22:23], v[20:21], v[18:19]
	v_fma_f64 v[16:17], -v[16:17], v[22:23], v[20:21]
	s_delay_alu instid0(VALU_DEP_1) | instskip(NEXT) | instid1(VALU_DEP_1)
	v_div_fmas_f64 v[16:17], v[16:17], v[18:19], v[22:23]
	v_div_fixup_f64 v[4:5], v[16:17], v[4:5], 1.0
	s_delay_alu instid0(VALU_DEP_1)
	v_mul_f64_e32 v[6:7], v[6:7], v[4:5]
	v_xor_b32_e32 v5, 0x80000000, v5
	s_cbranch_execz .LBB3_12
	s_branch .LBB3_13
.LBB3_10:                               ;   in Loop: Header=BB3_7 Depth=1
                                        ; implicit-def: $vgpr4_vgpr5
                                        ; implicit-def: $vgpr6_vgpr7
	s_branch .LBB3_14
.LBB3_11:                               ;   in Loop: Header=BB3_7 Depth=1
                                        ; implicit-def: $vgpr4_vgpr5
                                        ; implicit-def: $vgpr6_vgpr7
.LBB3_12:                               ;   in Loop: Header=BB3_7 Depth=1
	v_div_scale_f64 v[4:5], null, v[0:1], v[0:1], v[2:3]
	v_div_scale_f64 v[18:19], vcc_lo, v[2:3], v[0:1], v[2:3]
	s_delay_alu instid0(VALU_DEP_2) | instskip(SKIP_1) | instid1(TRANS32_DEP_1)
	v_rcp_f64_e32 v[6:7], v[4:5]
	v_nop
	v_fma_f64 v[16:17], -v[4:5], v[6:7], 1.0
	s_delay_alu instid0(VALU_DEP_1) | instskip(NEXT) | instid1(VALU_DEP_1)
	v_fmac_f64_e32 v[6:7], v[6:7], v[16:17]
	v_fma_f64 v[16:17], -v[4:5], v[6:7], 1.0
	s_delay_alu instid0(VALU_DEP_1) | instskip(NEXT) | instid1(VALU_DEP_1)
	v_fmac_f64_e32 v[6:7], v[6:7], v[16:17]
	v_mul_f64_e32 v[16:17], v[18:19], v[6:7]
	s_delay_alu instid0(VALU_DEP_1) | instskip(NEXT) | instid1(VALU_DEP_1)
	v_fma_f64 v[4:5], -v[4:5], v[16:17], v[18:19]
	v_div_fmas_f64 v[4:5], v[4:5], v[6:7], v[16:17]
	s_delay_alu instid0(VALU_DEP_1) | instskip(NEXT) | instid1(VALU_DEP_1)
	v_div_fixup_f64 v[4:5], v[4:5], v[0:1], v[2:3]
	v_fma_f64 v[6:7], v[2:3], v[4:5], v[0:1]
	s_delay_alu instid0(VALU_DEP_1) | instskip(NEXT) | instid1(VALU_DEP_1)
	v_div_scale_f64 v[16:17], null, v[6:7], v[6:7], 1.0
	v_rcp_f64_e32 v[18:19], v[16:17]
	v_nop
	s_delay_alu instid0(TRANS32_DEP_1) | instskip(NEXT) | instid1(VALU_DEP_1)
	v_fma_f64 v[20:21], -v[16:17], v[18:19], 1.0
	v_fmac_f64_e32 v[18:19], v[18:19], v[20:21]
	s_delay_alu instid0(VALU_DEP_1) | instskip(NEXT) | instid1(VALU_DEP_1)
	v_fma_f64 v[20:21], -v[16:17], v[18:19], 1.0
	v_fmac_f64_e32 v[18:19], v[18:19], v[20:21]
	v_div_scale_f64 v[20:21], vcc_lo, 1.0, v[6:7], 1.0
	s_delay_alu instid0(VALU_DEP_1) | instskip(NEXT) | instid1(VALU_DEP_1)
	v_mul_f64_e32 v[22:23], v[20:21], v[18:19]
	v_fma_f64 v[16:17], -v[16:17], v[22:23], v[20:21]
	s_delay_alu instid0(VALU_DEP_1) | instskip(NEXT) | instid1(VALU_DEP_1)
	v_div_fmas_f64 v[16:17], v[16:17], v[18:19], v[22:23]
	v_div_fixup_f64 v[6:7], v[16:17], v[6:7], 1.0
	s_delay_alu instid0(VALU_DEP_1)
	v_mul_f64_e64 v[4:5], v[4:5], -v[6:7]
.LBB3_13:                               ;   in Loop: Header=BB3_7 Depth=1
	s_cbranch_execnz .LBB3_15
.LBB3_14:                               ;   in Loop: Header=BB3_7 Depth=1
	v_mov_b64_e32 v[6:7], v[0:1]
	v_mov_b64_e32 v[4:5], v[2:3]
	s_add_co_i32 s11, s19, 1
.LBB3_15:                               ;   in Loop: Header=BB3_7 Depth=1
	s_mov_b32 s4, exec_lo
	v_cmpx_ne_u32_e64 s19, v9
	s_cbranch_execnz .LBB3_26
; %bb.16:                               ;   in Loop: Header=BB3_7 Depth=1
	s_or_b32 exec_lo, exec_lo, s4
	s_and_saveexec_b32 s4, s15
	s_cbranch_execz .LBB3_18
.LBB3_17:                               ;   in Loop: Header=BB3_7 Depth=1
	v_add_nc_u32_e32 v0, s19, v12
	flat_load_b128 v[0:3], v0, s[6:7] scale_offset
	s_wait_loadcnt_dscnt 0x0
	ds_store_2addr_b64 v14, v[0:1], v[2:3] offset1:1
.LBB3_18:                               ;   in Loop: Header=BB3_7 Depth=1
	s_wait_xcnt 0x0
	s_or_b32 exec_lo, exec_lo, s4
	v_cmp_lt_u32_e32 vcc_lo, s19, v9
	s_wait_storecnt_dscnt 0x0
	s_barrier_signal -1
	s_barrier_wait -1
	s_and_b32 s20, s3, vcc_lo
	s_delay_alu instid0(SALU_CYCLE_1)
	s_and_saveexec_b32 s4, s20
	s_cbranch_execz .LBB3_24
; %bb.19:                               ;   in Loop: Header=BB3_7 Depth=1
	v_add_nc_u32_e32 v0, s19, v10
	s_mov_b32 s20, exec_lo
	s_delay_alu instid0(VALU_DEP_1)
	v_cmpx_gt_i32_e64 s5, v0
	s_cbranch_execz .LBB3_22
; %bb.20:                               ;   in Loop: Header=BB3_7 Depth=1
	v_dual_mov_b32 v1, v15 :: v_dual_mov_b32 v2, v13
	s_mov_b32 s21, 0
.LBB3_21:                               ;   Parent Loop BB3_7 Depth=1
                                        ; =>  This Inner Loop Header: Depth=2
	flat_load_b128 v[16:19], v2, s[6:7] scale_offset
	ds_load_2addr_b64 v[20:23], v1 offset1:1
	v_dual_add_nc_u32 v0, s13, v0 :: v_dual_add_nc_u32 v1, s18, v1
	s_delay_alu instid0(VALU_DEP_1) | instskip(SKIP_4) | instid1(VALU_DEP_2)
	v_cmp_le_i32_e32 vcc_lo, s5, v0
	s_or_b32 s21, vcc_lo, s21
	s_wait_dscnt 0x0
	v_mul_f64_e32 v[24:25], v[4:5], v[22:23]
	v_mul_f64_e32 v[22:23], v[6:7], v[22:23]
	v_fma_f64 v[24:25], v[6:7], v[20:21], -v[24:25]
	s_delay_alu instid0(VALU_DEP_2) | instskip(SKIP_1) | instid1(VALU_DEP_2)
	v_fmac_f64_e32 v[22:23], v[4:5], v[20:21]
	s_wait_loadcnt 0x0
	v_add_f64_e64 v[16:17], v[16:17], -v[24:25]
	s_delay_alu instid0(VALU_DEP_2)
	v_add_f64_e64 v[18:19], v[18:19], -v[22:23]
	flat_store_b128 v2, v[16:19], s[6:7] scale_offset
	s_wait_xcnt 0x0
	v_add_nc_u32_e32 v2, s17, v2
	s_and_not1_b32 exec_lo, exec_lo, s21
	s_cbranch_execnz .LBB3_21
.LBB3_22:                               ;   in Loop: Header=BB3_7 Depth=1
	s_or_b32 exec_lo, exec_lo, s20
	s_cmp_lt_i32 s19, s16
	s_cselect_b32 s20, -1, 0
	s_delay_alu instid0(SALU_CYCLE_1) | instskip(NEXT) | instid1(SALU_CYCLE_1)
	s_and_b32 s20, s2, s20
	s_and_b32 exec_lo, exec_lo, s20
	s_cbranch_execz .LBB3_24
; %bb.23:                               ;   in Loop: Header=BB3_7 Depth=1
	s_add_co_i32 s20, s19, 1
	s_add_co_i32 s9, s14, s9
	v_mad_u32 v22, s20, s12, v9
	v_mov_b32_e32 v16, s9
	ds_load_2addr_b64 v[16:19], v16 offset0:2 offset1:3
	flat_load_b128 v[0:3], v22, s[6:7] scale_offset
	s_wait_dscnt 0x1
	v_mul_f64_e32 v[20:21], v[4:5], v[18:19]
	v_mul_f64_e32 v[18:19], v[6:7], v[18:19]
	s_delay_alu instid0(VALU_DEP_2) | instskip(NEXT) | instid1(VALU_DEP_2)
	v_fma_f64 v[6:7], v[6:7], v[16:17], -v[20:21]
	v_fmac_f64_e32 v[18:19], v[4:5], v[16:17]
	s_wait_loadcnt_dscnt 0x0
	s_delay_alu instid0(VALU_DEP_2) | instskip(NEXT) | instid1(VALU_DEP_2)
	v_add_f64_e64 v[0:1], v[0:1], -v[6:7]
	v_add_f64_e64 v[2:3], v[2:3], -v[18:19]
	flat_store_b128 v22, v[0:3], s[6:7] scale_offset
	ds_store_2addr_b64 v11, v[0:1], v[2:3] offset1:1
.LBB3_24:                               ;   in Loop: Header=BB3_7 Depth=1
	s_wait_xcnt 0x0
	s_or_b32 exec_lo, exec_lo, s4
	v_cmp_ge_u32_e32 vcc_lo, s19, v9
	s_and_b32 s9, s2, vcc_lo
	s_delay_alu instid0(SALU_CYCLE_1)
	s_and_saveexec_b32 s4, s9
	s_cbranch_execz .LBB3_6
; %bb.25:                               ;   in Loop: Header=BB3_7 Depth=1
	s_mov_b32 s9, s8
	s_mov_b32 s20, s8
	;; [unrolled: 1-line block ×3, first 2 shown]
	v_mov_b64_e32 v[0:1], s[8:9]
	v_mov_b64_e32 v[2:3], s[20:21]
	ds_store_2addr_b64 v11, v[0:1], v[2:3] offset1:1
	s_branch .LBB3_6
.LBB3_26:                               ;   in Loop: Header=BB3_7 Depth=1
	ds_load_2addr_b64 v[16:19], v11 offset1:1
	v_cmp_le_u32_e32 vcc_lo, s19, v9
	s_and_b32 s20, s2, vcc_lo
	s_delay_alu instid0(SALU_CYCLE_1) | instskip(SKIP_3) | instid1(VALU_DEP_2)
	s_and_b32 s21, s3, s20
	s_wait_dscnt 0x0
	v_mul_f64_e32 v[0:1], v[4:5], v[18:19]
	v_mul_f64_e32 v[2:3], v[6:7], v[18:19]
	v_fma_f64 v[0:1], v[6:7], v[16:17], -v[0:1]
	s_delay_alu instid0(VALU_DEP_2)
	v_fmac_f64_e32 v[2:3], v[4:5], v[16:17]
	s_and_saveexec_b32 s20, s21
	s_cbranch_execz .LBB3_28
; %bb.27:                               ;   in Loop: Header=BB3_7 Depth=1
	v_mad_u32 v4, s19, s12, v9
	flat_store_b128 v4, v[0:3], s[6:7] scale_offset
.LBB3_28:                               ;   in Loop: Header=BB3_7 Depth=1
	s_wait_xcnt 0x0
	s_or_b32 exec_lo, exec_lo, s20
	s_delay_alu instid0(VALU_DEP_2) | instskip(NEXT) | instid1(VALU_DEP_2)
	v_mov_b64_e32 v[6:7], v[0:1]
	v_mov_b64_e32 v[4:5], v[2:3]
	s_or_b32 exec_lo, exec_lo, s4
	s_and_saveexec_b32 s4, s15
	s_cbranch_execnz .LBB3_17
	s_branch .LBB3_18
.LBB3_29:
	s_mov_b32 s11, 0
.LBB3_30:
	s_mov_b32 s3, 0
	s_mov_b32 s2, exec_lo
	v_cmpx_eq_u32_e32 0, v9
	s_cbranch_execz .LBB3_33
; %bb.31:
	s_load_b64 s[4:5], s[0:1], 0x28
	v_mov_b32_e32 v0, s10
	s_cmp_gt_i32 s11, 0
	s_cselect_b32 s2, -1, 0
	s_wait_kmcnt 0x0
	global_load_b32 v0, v0, s[4:5] scale_offset
	s_wait_loadcnt 0x0
	v_or_b32_e32 v0, v0, v8
	s_delay_alu instid0(VALU_DEP_1) | instskip(SKIP_1) | instid1(SALU_CYCLE_1)
	v_cmp_eq_u32_e32 vcc_lo, 0, v0
	s_and_b32 s2, vcc_lo, s2
	s_and_b32 exec_lo, exec_lo, s2
	s_cbranch_execz .LBB3_33
; %bb.32:
	s_load_b32 s0, s[0:1], 0x34
	s_lshl_b32 s2, s10, 2
	s_wait_kmcnt 0x0
	s_add_co_i32 s0, s11, s0
	s_delay_alu instid0(SALU_CYCLE_1)
	v_dual_mov_b32 v0, 0 :: v_dual_mov_b32 v1, s0
	s_add_nc_u64 s[0:1], s[4:5], s[2:3]
	global_store_b32 v0, v1, s[0:1]
.LBB3_33:
	s_endpgm
	.section	.rodata,"a",@progbits
	.p2align	6, 0x0
	.amdhsa_kernel _ZN9rocsolver6v33100L23getf2_npvt_panel_kernelI19rocblas_complex_numIdEiiPKPS3_EEvT0_S7_T2_lS7_lPT1_S7_S7_
		.amdhsa_group_segment_fixed_size 0
		.amdhsa_private_segment_fixed_size 0
		.amdhsa_kernarg_size 312
		.amdhsa_user_sgpr_count 2
		.amdhsa_user_sgpr_dispatch_ptr 0
		.amdhsa_user_sgpr_queue_ptr 0
		.amdhsa_user_sgpr_kernarg_segment_ptr 1
		.amdhsa_user_sgpr_dispatch_id 0
		.amdhsa_user_sgpr_kernarg_preload_length 0
		.amdhsa_user_sgpr_kernarg_preload_offset 0
		.amdhsa_user_sgpr_private_segment_size 0
		.amdhsa_wavefront_size32 1
		.amdhsa_uses_dynamic_stack 0
		.amdhsa_enable_private_segment 0
		.amdhsa_system_sgpr_workgroup_id_x 1
		.amdhsa_system_sgpr_workgroup_id_y 0
		.amdhsa_system_sgpr_workgroup_id_z 1
		.amdhsa_system_sgpr_workgroup_info 0
		.amdhsa_system_vgpr_workitem_id 1
		.amdhsa_next_free_vgpr 26
		.amdhsa_next_free_sgpr 22
		.amdhsa_named_barrier_count 0
		.amdhsa_reserve_vcc 1
		.amdhsa_float_round_mode_32 0
		.amdhsa_float_round_mode_16_64 0
		.amdhsa_float_denorm_mode_32 3
		.amdhsa_float_denorm_mode_16_64 3
		.amdhsa_fp16_overflow 0
		.amdhsa_memory_ordered 1
		.amdhsa_forward_progress 1
		.amdhsa_inst_pref_size 13
		.amdhsa_round_robin_scheduling 0
		.amdhsa_exception_fp_ieee_invalid_op 0
		.amdhsa_exception_fp_denorm_src 0
		.amdhsa_exception_fp_ieee_div_zero 0
		.amdhsa_exception_fp_ieee_overflow 0
		.amdhsa_exception_fp_ieee_underflow 0
		.amdhsa_exception_fp_ieee_inexact 0
		.amdhsa_exception_int_div_zero 0
	.end_amdhsa_kernel
	.section	.text._ZN9rocsolver6v33100L23getf2_npvt_panel_kernelI19rocblas_complex_numIdEiiPKPS3_EEvT0_S7_T2_lS7_lPT1_S7_S7_,"axG",@progbits,_ZN9rocsolver6v33100L23getf2_npvt_panel_kernelI19rocblas_complex_numIdEiiPKPS3_EEvT0_S7_T2_lS7_lPT1_S7_S7_,comdat
.Lfunc_end3:
	.size	_ZN9rocsolver6v33100L23getf2_npvt_panel_kernelI19rocblas_complex_numIdEiiPKPS3_EEvT0_S7_T2_lS7_lPT1_S7_S7_, .Lfunc_end3-_ZN9rocsolver6v33100L23getf2_npvt_panel_kernelI19rocblas_complex_numIdEiiPKPS3_EEvT0_S7_T2_lS7_lPT1_S7_S7_
                                        ; -- End function
	.set _ZN9rocsolver6v33100L23getf2_npvt_panel_kernelI19rocblas_complex_numIdEiiPKPS3_EEvT0_S7_T2_lS7_lPT1_S7_S7_.num_vgpr, 26
	.set _ZN9rocsolver6v33100L23getf2_npvt_panel_kernelI19rocblas_complex_numIdEiiPKPS3_EEvT0_S7_T2_lS7_lPT1_S7_S7_.num_agpr, 0
	.set _ZN9rocsolver6v33100L23getf2_npvt_panel_kernelI19rocblas_complex_numIdEiiPKPS3_EEvT0_S7_T2_lS7_lPT1_S7_S7_.numbered_sgpr, 22
	.set _ZN9rocsolver6v33100L23getf2_npvt_panel_kernelI19rocblas_complex_numIdEiiPKPS3_EEvT0_S7_T2_lS7_lPT1_S7_S7_.num_named_barrier, 0
	.set _ZN9rocsolver6v33100L23getf2_npvt_panel_kernelI19rocblas_complex_numIdEiiPKPS3_EEvT0_S7_T2_lS7_lPT1_S7_S7_.private_seg_size, 0
	.set _ZN9rocsolver6v33100L23getf2_npvt_panel_kernelI19rocblas_complex_numIdEiiPKPS3_EEvT0_S7_T2_lS7_lPT1_S7_S7_.uses_vcc, 1
	.set _ZN9rocsolver6v33100L23getf2_npvt_panel_kernelI19rocblas_complex_numIdEiiPKPS3_EEvT0_S7_T2_lS7_lPT1_S7_S7_.uses_flat_scratch, 0
	.set _ZN9rocsolver6v33100L23getf2_npvt_panel_kernelI19rocblas_complex_numIdEiiPKPS3_EEvT0_S7_T2_lS7_lPT1_S7_S7_.has_dyn_sized_stack, 0
	.set _ZN9rocsolver6v33100L23getf2_npvt_panel_kernelI19rocblas_complex_numIdEiiPKPS3_EEvT0_S7_T2_lS7_lPT1_S7_S7_.has_recursion, 0
	.set _ZN9rocsolver6v33100L23getf2_npvt_panel_kernelI19rocblas_complex_numIdEiiPKPS3_EEvT0_S7_T2_lS7_lPT1_S7_S7_.has_indirect_call, 0
	.section	.AMDGPU.csdata,"",@progbits
; Kernel info:
; codeLenInByte = 1624
; TotalNumSgprs: 24
; NumVgprs: 26
; ScratchSize: 0
; MemoryBound: 1
; FloatMode: 240
; IeeeMode: 1
; LDSByteSize: 0 bytes/workgroup (compile time only)
; SGPRBlocks: 0
; VGPRBlocks: 1
; NumSGPRsForWavesPerEU: 24
; NumVGPRsForWavesPerEU: 26
; NamedBarCnt: 0
; Occupancy: 16
; WaveLimiterHint : 1
; COMPUTE_PGM_RSRC2:SCRATCH_EN: 0
; COMPUTE_PGM_RSRC2:USER_SGPR: 2
; COMPUTE_PGM_RSRC2:TRAP_HANDLER: 0
; COMPUTE_PGM_RSRC2:TGID_X_EN: 1
; COMPUTE_PGM_RSRC2:TGID_Y_EN: 0
; COMPUTE_PGM_RSRC2:TGID_Z_EN: 1
; COMPUTE_PGM_RSRC2:TIDIG_COMP_CNT: 1
	.section	.text._ZN9rocsolver6v33100L25getf2_scale_update_kernelI19rocblas_complex_numIdEiPS3_EEvT0_S5_PT_T1_lS5_l,"axG",@progbits,_ZN9rocsolver6v33100L25getf2_scale_update_kernelI19rocblas_complex_numIdEiPS3_EEvT0_S5_PT_T1_lS5_l,comdat
	.globl	_ZN9rocsolver6v33100L25getf2_scale_update_kernelI19rocblas_complex_numIdEiPS3_EEvT0_S5_PT_T1_lS5_l ; -- Begin function _ZN9rocsolver6v33100L25getf2_scale_update_kernelI19rocblas_complex_numIdEiPS3_EEvT0_S5_PT_T1_lS5_l
	.p2align	8
	.type	_ZN9rocsolver6v33100L25getf2_scale_update_kernelI19rocblas_complex_numIdEiPS3_EEvT0_S5_PT_T1_lS5_l,@function
_ZN9rocsolver6v33100L25getf2_scale_update_kernelI19rocblas_complex_numIdEiPS3_EEvT0_S5_PT_T1_lS5_l: ; @_ZN9rocsolver6v33100L25getf2_scale_update_kernelI19rocblas_complex_numIdEiPS3_EEvT0_S5_PT_T1_lS5_l
; %bb.0:
	s_clause 0x4
	s_load_b96 s[8:10], s[0:1], 0x18
	s_load_b32 s11, s[0:1], 0x3c
	s_load_b64 s[14:15], s[0:1], 0x28
	s_load_b64 s[2:3], s[0:1], 0x0
	s_load_b128 s[4:7], s[0:1], 0x8
	s_wait_xcnt 0x0
	s_bfe_u32 s0, ttmp6, 0x40014
	s_lshr_b32 s12, ttmp7, 16
	s_add_co_i32 s13, s0, 1
	s_bfe_u32 s1, ttmp6, 0x40008
	s_mul_i32 s13, s12, s13
	s_getreg_b32 s0, hwreg(HW_REG_IB_STS2, 6, 4)
	s_add_co_i32 s16, s1, s13
	s_mov_b32 s13, 0
	v_and_b32_e32 v5, 0x3ff, v0
	v_bfe_u32 v4, v0, 10, 10
	s_wait_kmcnt 0x0
	s_ashr_i32 s17, s10, 31
	s_lshr_b32 s1, s11, 16
	s_and_b32 s11, s11, 0xffff
	s_cmp_eq_u32 s0, 0
	v_mad_u32_u24 v0, v5, s1, v4
	s_cselect_b32 s12, s12, s16
	s_mov_b32 s16, s10
	s_mul_u64 s[14:15], s[14:15], s[12:13]
	s_lshl_b64 s[8:9], s[8:9], 4
	s_lshl_b64 s[14:15], s[14:15], 4
	s_mov_b32 s13, exec_lo
	s_add_nc_u64 s[6:7], s[6:7], s[14:15]
	s_delay_alu instid0(SALU_CYCLE_1) | instskip(SKIP_1) | instid1(SALU_CYCLE_1)
	s_add_nc_u64 s[8:9], s[6:7], s[8:9]
	s_lshl_b64 s[6:7], s[16:17], 4
	s_add_nc_u64 s[6:7], s[8:9], s[6:7]
	v_cmpx_gt_i32_e64 s3, v0
	s_cbranch_execz .LBB4_2
; %bb.1:
	v_mul_lo_u32 v1, v0, s10
	v_lshlrev_b32_e32 v0, 4, v0
	s_lshl_b32 s14, s11, 4
	s_delay_alu instid0(VALU_DEP_1) | instid1(SALU_CYCLE_1)
	v_add3_u32 v0, 0, s14, v0
	global_load_b128 v[6:9], v1, s[6:7] scale_offset
	s_wait_loadcnt 0x0
	ds_store_2addr_b64 v0, v[6:7], v[8:9] offset1:1
.LBB4_2:
	s_or_b32 exec_lo, exec_lo, s13
	s_bfe_u32 s13, ttmp6, 0x4000c
	s_and_b32 s14, ttmp6, 15
	s_add_co_i32 s13, s13, 1
	v_lshl_add_u32 v0, v5, 4, 0
	s_mul_i32 s13, ttmp9, s13
	s_delay_alu instid0(SALU_CYCLE_1) | instskip(SKIP_3) | instid1(SALU_CYCLE_1)
	s_add_co_i32 s14, s14, s13
	s_cmp_eq_u32 s0, 0
	v_cmp_eq_u32_e64 s0, 0, v4
	s_cselect_b32 s13, ttmp9, s14
	s_mul_i32 s13, s13, s11
	s_delay_alu instid0(SALU_CYCLE_1) | instskip(NEXT) | instid1(VALU_DEP_1)
	v_add_nc_u32_e32 v1, s13, v5
	v_cmp_gt_i32_e32 vcc_lo, s2, v1
	s_and_b32 s2, s0, vcc_lo
	s_delay_alu instid0(SALU_CYCLE_1)
	s_and_saveexec_b32 s0, s2
	s_cbranch_execz .LBB4_4
; %bb.3:
	global_load_b128 v[6:9], v1, s[8:9] offset:16 scale_offset
	s_load_b128 s[16:19], s[4:5], s12 offset:0x0 scale_offset
	s_wait_loadcnt 0x0
	s_wait_kmcnt 0x0
	v_mul_f64_e32 v[2:3], s[18:19], v[8:9]
	v_mul_f64_e32 v[10:11], s[16:17], v[8:9]
	s_delay_alu instid0(VALU_DEP_2) | instskip(NEXT) | instid1(VALU_DEP_2)
	v_fma_f64 v[8:9], s[16:17], v[6:7], -v[2:3]
	v_fmac_f64_e32 v[10:11], s[18:19], v[6:7]
	ds_store_2addr_b64 v0, v[8:9], v[10:11] offset1:1
	global_store_b128 v1, v[8:11], s[8:9] offset:16 scale_offset
.LBB4_4:
	s_wait_xcnt 0x0
	s_or_b32 exec_lo, exec_lo, s0
	v_cmp_gt_i32_e64 s0, s3, v4
	s_wait_storecnt_dscnt 0x0
	s_barrier_signal -1
	s_barrier_wait -1
	s_and_b32 s0, vcc_lo, s0
	s_delay_alu instid0(SALU_CYCLE_1)
	s_and_saveexec_b32 s2, s0
	s_cbranch_execz .LBB4_7
; %bb.5:
	ds_load_2addr_b64 v[0:3], v0 offset1:1
	v_mul_lo_u32 v6, v4, s10
	v_lshlrev_b32_e32 v7, 4, v4
	s_lshl_b32 s0, s11, 4
	s_mul_i32 s2, s10, s1
	s_lshl_b32 s4, s1, 4
	s_delay_alu instid0(VALU_DEP_2)
	v_add3_u32 v5, v5, v6, s13
	v_add3_u32 v6, 0, s0, v7
	s_mov_b32 s0, 0
.LBB4_6:                                ; =>This Inner Loop Header: Depth=1
	global_load_b128 v[8:11], v5, s[6:7] offset:16 scale_offset
	ds_load_2addr_b64 v[12:15], v6 offset1:1
	v_dual_add_nc_u32 v4, s1, v4 :: v_dual_add_nc_u32 v6, s4, v6
	s_delay_alu instid0(VALU_DEP_1) | instskip(SKIP_4) | instid1(VALU_DEP_2)
	v_cmp_le_i32_e32 vcc_lo, s3, v4
	s_or_b32 s0, vcc_lo, s0
	s_wait_dscnt 0x0
	v_mul_f64_e32 v[16:17], v[14:15], v[2:3]
	v_mul_f64_e32 v[18:19], v[12:13], v[2:3]
	v_fma_f64 v[12:13], v[12:13], v[0:1], -v[16:17]
	s_delay_alu instid0(VALU_DEP_2) | instskip(SKIP_1) | instid1(VALU_DEP_2)
	v_fmac_f64_e32 v[18:19], v[14:15], v[0:1]
	s_wait_loadcnt 0x0
	v_add_f64_e64 v[8:9], v[8:9], -v[12:13]
	s_delay_alu instid0(VALU_DEP_2)
	v_add_f64_e64 v[10:11], v[10:11], -v[18:19]
	global_store_b128 v5, v[8:11], s[6:7] offset:16 scale_offset
	s_wait_xcnt 0x0
	v_add_nc_u32_e32 v5, s2, v5
	s_and_not1_b32 exec_lo, exec_lo, s0
	s_cbranch_execnz .LBB4_6
.LBB4_7:
	s_endpgm
	.section	.rodata,"a",@progbits
	.p2align	6, 0x0
	.amdhsa_kernel _ZN9rocsolver6v33100L25getf2_scale_update_kernelI19rocblas_complex_numIdEiPS3_EEvT0_S5_PT_T1_lS5_l
		.amdhsa_group_segment_fixed_size 0
		.amdhsa_private_segment_fixed_size 0
		.amdhsa_kernarg_size 304
		.amdhsa_user_sgpr_count 2
		.amdhsa_user_sgpr_dispatch_ptr 0
		.amdhsa_user_sgpr_queue_ptr 0
		.amdhsa_user_sgpr_kernarg_segment_ptr 1
		.amdhsa_user_sgpr_dispatch_id 0
		.amdhsa_user_sgpr_kernarg_preload_length 0
		.amdhsa_user_sgpr_kernarg_preload_offset 0
		.amdhsa_user_sgpr_private_segment_size 0
		.amdhsa_wavefront_size32 1
		.amdhsa_uses_dynamic_stack 0
		.amdhsa_enable_private_segment 0
		.amdhsa_system_sgpr_workgroup_id_x 1
		.amdhsa_system_sgpr_workgroup_id_y 0
		.amdhsa_system_sgpr_workgroup_id_z 1
		.amdhsa_system_sgpr_workgroup_info 0
		.amdhsa_system_vgpr_workitem_id 1
		.amdhsa_next_free_vgpr 20
		.amdhsa_next_free_sgpr 20
		.amdhsa_named_barrier_count 0
		.amdhsa_reserve_vcc 1
		.amdhsa_float_round_mode_32 0
		.amdhsa_float_round_mode_16_64 0
		.amdhsa_float_denorm_mode_32 3
		.amdhsa_float_denorm_mode_16_64 3
		.amdhsa_fp16_overflow 0
		.amdhsa_memory_ordered 1
		.amdhsa_forward_progress 1
		.amdhsa_inst_pref_size 5
		.amdhsa_round_robin_scheduling 0
		.amdhsa_exception_fp_ieee_invalid_op 0
		.amdhsa_exception_fp_denorm_src 0
		.amdhsa_exception_fp_ieee_div_zero 0
		.amdhsa_exception_fp_ieee_overflow 0
		.amdhsa_exception_fp_ieee_underflow 0
		.amdhsa_exception_fp_ieee_inexact 0
		.amdhsa_exception_int_div_zero 0
	.end_amdhsa_kernel
	.section	.text._ZN9rocsolver6v33100L25getf2_scale_update_kernelI19rocblas_complex_numIdEiPS3_EEvT0_S5_PT_T1_lS5_l,"axG",@progbits,_ZN9rocsolver6v33100L25getf2_scale_update_kernelI19rocblas_complex_numIdEiPS3_EEvT0_S5_PT_T1_lS5_l,comdat
.Lfunc_end4:
	.size	_ZN9rocsolver6v33100L25getf2_scale_update_kernelI19rocblas_complex_numIdEiPS3_EEvT0_S5_PT_T1_lS5_l, .Lfunc_end4-_ZN9rocsolver6v33100L25getf2_scale_update_kernelI19rocblas_complex_numIdEiPS3_EEvT0_S5_PT_T1_lS5_l
                                        ; -- End function
	.set _ZN9rocsolver6v33100L25getf2_scale_update_kernelI19rocblas_complex_numIdEiPS3_EEvT0_S5_PT_T1_lS5_l.num_vgpr, 20
	.set _ZN9rocsolver6v33100L25getf2_scale_update_kernelI19rocblas_complex_numIdEiPS3_EEvT0_S5_PT_T1_lS5_l.num_agpr, 0
	.set _ZN9rocsolver6v33100L25getf2_scale_update_kernelI19rocblas_complex_numIdEiPS3_EEvT0_S5_PT_T1_lS5_l.numbered_sgpr, 20
	.set _ZN9rocsolver6v33100L25getf2_scale_update_kernelI19rocblas_complex_numIdEiPS3_EEvT0_S5_PT_T1_lS5_l.num_named_barrier, 0
	.set _ZN9rocsolver6v33100L25getf2_scale_update_kernelI19rocblas_complex_numIdEiPS3_EEvT0_S5_PT_T1_lS5_l.private_seg_size, 0
	.set _ZN9rocsolver6v33100L25getf2_scale_update_kernelI19rocblas_complex_numIdEiPS3_EEvT0_S5_PT_T1_lS5_l.uses_vcc, 1
	.set _ZN9rocsolver6v33100L25getf2_scale_update_kernelI19rocblas_complex_numIdEiPS3_EEvT0_S5_PT_T1_lS5_l.uses_flat_scratch, 0
	.set _ZN9rocsolver6v33100L25getf2_scale_update_kernelI19rocblas_complex_numIdEiPS3_EEvT0_S5_PT_T1_lS5_l.has_dyn_sized_stack, 0
	.set _ZN9rocsolver6v33100L25getf2_scale_update_kernelI19rocblas_complex_numIdEiPS3_EEvT0_S5_PT_T1_lS5_l.has_recursion, 0
	.set _ZN9rocsolver6v33100L25getf2_scale_update_kernelI19rocblas_complex_numIdEiPS3_EEvT0_S5_PT_T1_lS5_l.has_indirect_call, 0
	.section	.AMDGPU.csdata,"",@progbits
; Kernel info:
; codeLenInByte = 632
; TotalNumSgprs: 22
; NumVgprs: 20
; ScratchSize: 0
; MemoryBound: 0
; FloatMode: 240
; IeeeMode: 1
; LDSByteSize: 0 bytes/workgroup (compile time only)
; SGPRBlocks: 0
; VGPRBlocks: 1
; NumSGPRsForWavesPerEU: 22
; NumVGPRsForWavesPerEU: 20
; NamedBarCnt: 0
; Occupancy: 16
; WaveLimiterHint : 0
; COMPUTE_PGM_RSRC2:SCRATCH_EN: 0
; COMPUTE_PGM_RSRC2:USER_SGPR: 2
; COMPUTE_PGM_RSRC2:TRAP_HANDLER: 0
; COMPUTE_PGM_RSRC2:TGID_X_EN: 1
; COMPUTE_PGM_RSRC2:TGID_Y_EN: 0
; COMPUTE_PGM_RSRC2:TGID_Z_EN: 1
; COMPUTE_PGM_RSRC2:TIDIG_COMP_CNT: 1
	.section	.text._ZN9rocsolver6v33100L25getf2_scale_update_kernelI19rocblas_complex_numIdEiPKPS3_EEvT0_S7_PT_T1_lS7_l,"axG",@progbits,_ZN9rocsolver6v33100L25getf2_scale_update_kernelI19rocblas_complex_numIdEiPKPS3_EEvT0_S7_PT_T1_lS7_l,comdat
	.globl	_ZN9rocsolver6v33100L25getf2_scale_update_kernelI19rocblas_complex_numIdEiPKPS3_EEvT0_S7_PT_T1_lS7_l ; -- Begin function _ZN9rocsolver6v33100L25getf2_scale_update_kernelI19rocblas_complex_numIdEiPKPS3_EEvT0_S7_PT_T1_lS7_l
	.p2align	8
	.type	_ZN9rocsolver6v33100L25getf2_scale_update_kernelI19rocblas_complex_numIdEiPKPS3_EEvT0_S7_PT_T1_lS7_l,@function
_ZN9rocsolver6v33100L25getf2_scale_update_kernelI19rocblas_complex_numIdEiPKPS3_EEvT0_S7_PT_T1_lS7_l: ; @_ZN9rocsolver6v33100L25getf2_scale_update_kernelI19rocblas_complex_numIdEiPKPS3_EEvT0_S7_PT_T1_lS7_l
; %bb.0:
	s_clause 0x2
	s_load_b96 s[8:10], s[0:1], 0x18
	s_load_b32 s2, s[0:1], 0x3c
	s_load_b128 s[4:7], s[0:1], 0x8
	s_bfe_u32 s3, ttmp6, 0x40014
	s_lshr_b32 s13, ttmp7, 16
	s_add_co_i32 s3, s3, 1
	s_bfe_u32 s11, ttmp6, 0x40008
	s_mul_i32 s3, s13, s3
	s_getreg_b32 s14, hwreg(HW_REG_IB_STS2, 6, 4)
	s_add_co_i32 s3, s11, s3
	v_and_b32_e32 v2, 0x3ff, v0
	v_bfe_u32 v0, v0, 10, 10
	s_wait_kmcnt 0x0
	s_ashr_i32 s17, s10, 31
	s_lshr_b32 s11, s2, 16
	s_and_b32 s12, s2, 0xffff
	s_cmp_eq_u32 s14, 0
	s_mov_b32 s16, s10
	s_cselect_b32 s13, s13, s3
	s_load_b64 s[2:3], s[0:1], 0x0
	s_load_b64 s[18:19], s[6:7], s13 offset:0x0 scale_offset
	s_wait_xcnt 0x0
	s_lshl_b64 s[0:1], s[8:9], 4
	v_mad_u32_u24 v1, v2, s11, v0
	s_wait_kmcnt 0x0
	s_add_nc_u64 s[8:9], s[18:19], s[0:1]
	s_lshl_b64 s[0:1], s[16:17], 4
	s_delay_alu instid0(SALU_CYCLE_1)
	s_add_nc_u64 s[6:7], s[8:9], s[0:1]
	s_mov_b32 s0, exec_lo
	v_cmpx_gt_i32_e64 s3, v1
	s_cbranch_execz .LBB5_2
; %bb.1:
	v_mul_lo_u32 v3, v1, s10
	v_lshlrev_b32_e32 v1, 4, v1
	s_lshl_b32 s1, s12, 4
	s_delay_alu instid0(VALU_DEP_1) | instid1(SALU_CYCLE_1)
	v_add3_u32 v1, 0, s1, v1
	flat_load_b128 v[4:7], v3, s[6:7] scale_offset
	s_wait_loadcnt_dscnt 0x0
	ds_store_2addr_b64 v1, v[4:5], v[6:7] offset1:1
.LBB5_2:
	s_or_b32 exec_lo, exec_lo, s0
	s_bfe_u32 s0, ttmp6, 0x4000c
	s_and_b32 s1, ttmp6, 15
	s_add_co_i32 s0, s0, 1
	v_lshl_add_u32 v1, v2, 4, 0
	s_mul_i32 s0, ttmp9, s0
	s_delay_alu instid0(SALU_CYCLE_1) | instskip(SKIP_3) | instid1(SALU_CYCLE_1)
	s_add_co_i32 s1, s1, s0
	s_cmp_eq_u32 s14, 0
	v_cmp_eq_u32_e64 s0, 0, v0
	s_cselect_b32 s1, ttmp9, s1
	s_mul_i32 s1, s1, s12
	s_delay_alu instid0(SALU_CYCLE_1) | instskip(NEXT) | instid1(VALU_DEP_1)
	v_add_nc_u32_e32 v3, s1, v2
	v_cmp_gt_i32_e32 vcc_lo, s2, v3
	s_and_b32 s2, s0, vcc_lo
	s_delay_alu instid0(SALU_CYCLE_1)
	s_and_saveexec_b32 s0, s2
	s_cbranch_execz .LBB5_4
; %bb.3:
	flat_load_b128 v[4:7], v3, s[8:9] offset:16 scale_offset
	s_load_b128 s[16:19], s[4:5], s13 offset:0x0 scale_offset
	s_wait_loadcnt_dscnt 0x0
	s_wait_kmcnt 0x0
	v_mul_f64_e32 v[10:11], s[18:19], v[6:7]
	v_mul_f64_e32 v[8:9], s[16:17], v[6:7]
	s_delay_alu instid0(VALU_DEP_2) | instskip(NEXT) | instid1(VALU_DEP_2)
	v_fma_f64 v[6:7], s[16:17], v[4:5], -v[10:11]
	v_fmac_f64_e32 v[8:9], s[18:19], v[4:5]
	ds_store_2addr_b64 v1, v[6:7], v[8:9] offset1:1
	flat_store_b128 v3, v[6:9], s[8:9] offset:16 scale_offset
.LBB5_4:
	s_wait_xcnt 0x0
	s_or_b32 exec_lo, exec_lo, s0
	v_cmp_gt_i32_e64 s0, s3, v0
	s_wait_storecnt_dscnt 0x0
	s_barrier_signal -1
	s_barrier_wait -1
	s_and_b32 s0, vcc_lo, s0
	s_delay_alu instid0(SALU_CYCLE_1)
	s_and_saveexec_b32 s2, s0
	s_cbranch_execz .LBB5_7
; %bb.5:
	v_mul_lo_u32 v3, v0, s10
	v_lshlrev_b32_e32 v4, 4, v0
	s_lshl_b32 s0, s12, 4
	s_lshl_b32 s2, s11, 4
	s_delay_alu instid0(VALU_DEP_2) | instskip(NEXT) | instid1(VALU_DEP_2)
	v_add3_u32 v2, v2, v3, s1
	v_add3_u32 v3, 0, s0, v4
	s_mov_b32 s0, 0
	s_mul_i32 s1, s10, s11
.LBB5_6:                                ; =>This Inner Loop Header: Depth=1
	flat_load_b128 v[4:7], v2, s[6:7] offset:16 scale_offset
	ds_load_2addr_b64 v[8:11], v3 offset1:1
	ds_load_2addr_b64 v[12:15], v1 offset1:1
	v_dual_add_nc_u32 v0, s11, v0 :: v_dual_add_nc_u32 v3, s2, v3
	s_delay_alu instid0(VALU_DEP_1) | instskip(SKIP_4) | instid1(VALU_DEP_2)
	v_cmp_le_i32_e32 vcc_lo, s3, v0
	s_or_b32 s0, vcc_lo, s0
	s_wait_dscnt 0x0
	v_mul_f64_e32 v[16:17], v[10:11], v[14:15]
	v_mul_f64_e32 v[14:15], v[8:9], v[14:15]
	v_fma_f64 v[8:9], v[8:9], v[12:13], -v[16:17]
	s_delay_alu instid0(VALU_DEP_2) | instskip(SKIP_1) | instid1(VALU_DEP_2)
	v_fmac_f64_e32 v[14:15], v[10:11], v[12:13]
	s_wait_loadcnt 0x0
	v_add_f64_e64 v[4:5], v[4:5], -v[8:9]
	s_delay_alu instid0(VALU_DEP_2)
	v_add_f64_e64 v[6:7], v[6:7], -v[14:15]
	flat_store_b128 v2, v[4:7], s[6:7] offset:16 scale_offset
	s_wait_xcnt 0x0
	v_add_nc_u32_e32 v2, s1, v2
	s_and_not1_b32 exec_lo, exec_lo, s0
	s_cbranch_execnz .LBB5_6
.LBB5_7:
	s_endpgm
	.section	.rodata,"a",@progbits
	.p2align	6, 0x0
	.amdhsa_kernel _ZN9rocsolver6v33100L25getf2_scale_update_kernelI19rocblas_complex_numIdEiPKPS3_EEvT0_S7_PT_T1_lS7_l
		.amdhsa_group_segment_fixed_size 0
		.amdhsa_private_segment_fixed_size 0
		.amdhsa_kernarg_size 304
		.amdhsa_user_sgpr_count 2
		.amdhsa_user_sgpr_dispatch_ptr 0
		.amdhsa_user_sgpr_queue_ptr 0
		.amdhsa_user_sgpr_kernarg_segment_ptr 1
		.amdhsa_user_sgpr_dispatch_id 0
		.amdhsa_user_sgpr_kernarg_preload_length 0
		.amdhsa_user_sgpr_kernarg_preload_offset 0
		.amdhsa_user_sgpr_private_segment_size 0
		.amdhsa_wavefront_size32 1
		.amdhsa_uses_dynamic_stack 0
		.amdhsa_enable_private_segment 0
		.amdhsa_system_sgpr_workgroup_id_x 1
		.amdhsa_system_sgpr_workgroup_id_y 0
		.amdhsa_system_sgpr_workgroup_id_z 1
		.amdhsa_system_sgpr_workgroup_info 0
		.amdhsa_system_vgpr_workitem_id 1
		.amdhsa_next_free_vgpr 18
		.amdhsa_next_free_sgpr 20
		.amdhsa_named_barrier_count 0
		.amdhsa_reserve_vcc 1
		.amdhsa_float_round_mode_32 0
		.amdhsa_float_round_mode_16_64 0
		.amdhsa_float_denorm_mode_32 3
		.amdhsa_float_denorm_mode_16_64 3
		.amdhsa_fp16_overflow 0
		.amdhsa_memory_ordered 1
		.amdhsa_forward_progress 1
		.amdhsa_inst_pref_size 5
		.amdhsa_round_robin_scheduling 0
		.amdhsa_exception_fp_ieee_invalid_op 0
		.amdhsa_exception_fp_denorm_src 0
		.amdhsa_exception_fp_ieee_div_zero 0
		.amdhsa_exception_fp_ieee_overflow 0
		.amdhsa_exception_fp_ieee_underflow 0
		.amdhsa_exception_fp_ieee_inexact 0
		.amdhsa_exception_int_div_zero 0
	.end_amdhsa_kernel
	.section	.text._ZN9rocsolver6v33100L25getf2_scale_update_kernelI19rocblas_complex_numIdEiPKPS3_EEvT0_S7_PT_T1_lS7_l,"axG",@progbits,_ZN9rocsolver6v33100L25getf2_scale_update_kernelI19rocblas_complex_numIdEiPKPS3_EEvT0_S7_PT_T1_lS7_l,comdat
.Lfunc_end5:
	.size	_ZN9rocsolver6v33100L25getf2_scale_update_kernelI19rocblas_complex_numIdEiPKPS3_EEvT0_S7_PT_T1_lS7_l, .Lfunc_end5-_ZN9rocsolver6v33100L25getf2_scale_update_kernelI19rocblas_complex_numIdEiPKPS3_EEvT0_S7_PT_T1_lS7_l
                                        ; -- End function
	.set _ZN9rocsolver6v33100L25getf2_scale_update_kernelI19rocblas_complex_numIdEiPKPS3_EEvT0_S7_PT_T1_lS7_l.num_vgpr, 18
	.set _ZN9rocsolver6v33100L25getf2_scale_update_kernelI19rocblas_complex_numIdEiPKPS3_EEvT0_S7_PT_T1_lS7_l.num_agpr, 0
	.set _ZN9rocsolver6v33100L25getf2_scale_update_kernelI19rocblas_complex_numIdEiPKPS3_EEvT0_S7_PT_T1_lS7_l.numbered_sgpr, 20
	.set _ZN9rocsolver6v33100L25getf2_scale_update_kernelI19rocblas_complex_numIdEiPKPS3_EEvT0_S7_PT_T1_lS7_l.num_named_barrier, 0
	.set _ZN9rocsolver6v33100L25getf2_scale_update_kernelI19rocblas_complex_numIdEiPKPS3_EEvT0_S7_PT_T1_lS7_l.private_seg_size, 0
	.set _ZN9rocsolver6v33100L25getf2_scale_update_kernelI19rocblas_complex_numIdEiPKPS3_EEvT0_S7_PT_T1_lS7_l.uses_vcc, 1
	.set _ZN9rocsolver6v33100L25getf2_scale_update_kernelI19rocblas_complex_numIdEiPKPS3_EEvT0_S7_PT_T1_lS7_l.uses_flat_scratch, 0
	.set _ZN9rocsolver6v33100L25getf2_scale_update_kernelI19rocblas_complex_numIdEiPKPS3_EEvT0_S7_PT_T1_lS7_l.has_dyn_sized_stack, 0
	.set _ZN9rocsolver6v33100L25getf2_scale_update_kernelI19rocblas_complex_numIdEiPKPS3_EEvT0_S7_PT_T1_lS7_l.has_recursion, 0
	.set _ZN9rocsolver6v33100L25getf2_scale_update_kernelI19rocblas_complex_numIdEiPKPS3_EEvT0_S7_PT_T1_lS7_l.has_indirect_call, 0
	.section	.AMDGPU.csdata,"",@progbits
; Kernel info:
; codeLenInByte = 620
; TotalNumSgprs: 22
; NumVgprs: 18
; ScratchSize: 0
; MemoryBound: 0
; FloatMode: 240
; IeeeMode: 1
; LDSByteSize: 0 bytes/workgroup (compile time only)
; SGPRBlocks: 0
; VGPRBlocks: 1
; NumSGPRsForWavesPerEU: 22
; NumVGPRsForWavesPerEU: 18
; NamedBarCnt: 0
; Occupancy: 16
; WaveLimiterHint : 1
; COMPUTE_PGM_RSRC2:SCRATCH_EN: 0
; COMPUTE_PGM_RSRC2:USER_SGPR: 2
; COMPUTE_PGM_RSRC2:TRAP_HANDLER: 0
; COMPUTE_PGM_RSRC2:TGID_X_EN: 1
; COMPUTE_PGM_RSRC2:TGID_Y_EN: 0
; COMPUTE_PGM_RSRC2:TGID_Z_EN: 1
; COMPUTE_PGM_RSRC2:TIDIG_COMP_CNT: 1
	.section	.text._ZN9rocsolver6v33100L18getf2_panel_kernelI19rocblas_complex_numIdEllPS3_EEvT0_S5_T2_lS5_lPS5_llPT1_S5_S5_S7_l,"axG",@progbits,_ZN9rocsolver6v33100L18getf2_panel_kernelI19rocblas_complex_numIdEllPS3_EEvT0_S5_T2_lS5_lPS5_llPT1_S5_S5_S7_l,comdat
	.globl	_ZN9rocsolver6v33100L18getf2_panel_kernelI19rocblas_complex_numIdEllPS3_EEvT0_S5_T2_lS5_lPS5_llPT1_S5_S5_S7_l ; -- Begin function _ZN9rocsolver6v33100L18getf2_panel_kernelI19rocblas_complex_numIdEllPS3_EEvT0_S5_T2_lS5_lPS5_llPT1_S5_S5_S7_l
	.p2align	8
	.type	_ZN9rocsolver6v33100L18getf2_panel_kernelI19rocblas_complex_numIdEllPS3_EEvT0_S5_T2_lS5_lPS5_llPT1_S5_S5_S7_l,@function
_ZN9rocsolver6v33100L18getf2_panel_kernelI19rocblas_complex_numIdEllPS3_EEvT0_S5_T2_lS5_lPS5_llPT1_S5_S5_S7_l: ; @_ZN9rocsolver6v33100L18getf2_panel_kernelI19rocblas_complex_numIdEllPS3_EEvT0_S5_T2_lS5_lPS5_llPT1_S5_S5_S7_l
; %bb.0:
	s_clause 0x2
	s_load_b128 s[20:23], s[0:1], 0x58
	s_load_b64 s[2:3], s[0:1], 0x68
	s_load_b32 s40, s[0:1], 0x7c
	s_bfe_u32 s4, ttmp6, 0x40014
	s_lshr_b32 s5, ttmp7, 16
	s_add_co_i32 s4, s4, 1
	s_bfe_u32 s6, ttmp6, 0x40008
	s_mul_i32 s4, s5, s4
	s_getreg_b32 s7, hwreg(HW_REG_IB_STS2, 6, 4)
	s_add_co_i32 s6, s6, s4
	s_cmp_eq_u32 s7, 0
	s_mov_b32 s29, 0
	s_cselect_b32 s28, s5, s6
	s_mov_b64 s[30:31], 0
	s_wait_kmcnt 0x0
	s_cmp_eq_u64 s[22:23], 0
	s_cselect_b32 s33, -1, 0
	s_delay_alu instid0(SALU_CYCLE_1)
	s_and_b32 vcc_lo, exec_lo, s33
	s_cbranch_vccnz .LBB6_2
; %bb.1:
	s_mul_u64 s[2:3], s[2:3], s[28:29]
	s_delay_alu instid0(SALU_CYCLE_1) | instskip(NEXT) | instid1(SALU_CYCLE_1)
	s_lshl_b64 s[2:3], s[2:3], 3
	s_add_nc_u64 s[30:31], s[22:23], s[2:3]
.LBB6_2:
	s_load_b512 s[4:19], s[0:1], 0x0
	v_bfe_u32 v4, v0, 10, 10
	s_and_b32 s3, s40, 0xffff
	v_and_b32_e32 v8, 0x3ff, v0
	s_lshl_b32 s2, s3, 4
	v_mov_b32_e32 v9, 0
	s_add_co_i32 s44, s2, 16
	v_cmp_eq_u32_e64 s2, 0, v4
	s_lshl_b32 s22, s3, 3
                                        ; implicit-def: $vgpr12_vgpr13
	s_wait_kmcnt 0x0
	s_mul_u64 s[14:15], s[14:15], s[28:29]
	s_lshl_b64 s[34:35], s[10:11], 4
	s_lshl_b64 s[36:37], s[14:15], 4
	s_lshl_b32 s14, s6, 4
	s_add_nc_u64 s[10:11], s[8:9], s[36:37]
	s_add_co_i32 s45, s44, s14
	s_add_nc_u64 s[38:39], s[10:11], s[34:35]
	s_add_co_i32 s11, s45, s22
	s_and_saveexec_b32 s10, s2
	s_cbranch_execz .LBB6_6
; %bb.3:
	v_mov_b64_e32 v[0:1], 0
	v_mov_b64_e32 v[2:3], 0
	s_mov_b32 s14, exec_lo
	v_cmpx_gt_i64_e64 s[4:5], v[8:9]
	s_cbranch_execz .LBB6_5
; %bb.4:
	global_load_b128 v[0:3], v8, s[38:39] scale_offset
.LBB6_5:
	s_wait_xcnt 0x0
	s_or_b32 exec_lo, exec_lo, s14
	s_wait_loadcnt 0x0
	v_cmp_gt_f64_e32 vcc_lo, 0, v[0:1]
	v_lshl_add_u32 v6, v8, 4, 16
	v_xor_b32_e32 v7, 0x80000000, v1
	v_lshlrev_b32_e32 v5, 3, v8
	v_xor_b32_e32 v10, 0x80000000, v3
	ds_store_2addr_b64 v6, v[0:1], v[2:3] offset1:1
	v_cndmask_b32_e32 v1, v1, v7, vcc_lo
	v_cmp_gt_f64_e32 vcc_lo, 0, v[2:3]
	v_dual_add_nc_u32 v11, s11, v5 :: v_dual_cndmask_b32 v3, v3, v10, vcc_lo
	s_delay_alu instid0(VALU_DEP_1)
	v_dual_add_f64 v[12:13], v[0:1], v[2:3] :: v_dual_add_nc_u32 v0, s45, v5
	ds_store_b64 v0, v[12:13]
	ds_store_b64 v11, v[8:9]
.LBB6_6:
	s_or_b32 exec_lo, exec_lo, s10
	s_load_b128 s[24:27], s[0:1], 0x40
	s_wait_xcnt 0x0
	v_cmp_lt_i64_e64 s0, s[6:7], 1
	s_and_b32 vcc_lo, exec_lo, s0
	s_cbranch_vccnz .LBB6_54
; %bb.7:
	v_dual_mov_b32 v11, 0 :: v_dual_add_nc_u32 v10, 2, v4
	v_mul_u64_e32 v[18:19], s[12:13], v[8:9]
	v_cmp_gt_i64_e64 s0, s[4:5], v[8:9]
	v_cmp_le_i64_e64 s1, s[4:5], v[8:9]
	s_add_nc_u64 s[4:5], s[34:35], s[36:37]
	v_mul_u64_e32 v[0:1], s[12:13], v[10:11]
	v_dual_lshlrev_b32 v2, 4, v8 :: v_dual_lshlrev_b32 v6, 3, v8
	v_dual_mov_b32 v3, v11 :: v_dual_mov_b32 v7, v11
	v_dual_lshlrev_b32 v4, 4, v4 :: v_dual_bitop2_b32 v5, v8, v4 bitop3:0x54
	s_delay_alu instid0(VALU_DEP_3)
	v_dual_add_nc_u32 v32, s45, v6 :: v_dual_add_nc_u32 v33, s11, v6
	v_cmp_gt_u64_e32 vcc_lo, s[6:7], v[8:9]
	s_mov_b32 s10, 0
	s_lshr_b32 s14, s40, 16
	s_wait_kmcnt 0x0
	s_mul_u64 s[40:41], s[24:25], s[28:29]
	v_add_nc_u64_e32 v[14:15], s[38:39], v[2:3]
	v_add_nc_u64_e32 v[16:17], s[30:31], v[6:7]
	v_mov_b64_e32 v[22:23], 0
	s_lshl_b64 s[42:43], s[18:19], 3
	s_lshr_b32 s18, s3, 1
	s_mov_b32 s15, s10
	s_lshl_b64 s[34:35], s[40:41], 3
	s_cmp_gt_u32 s3, 1
	v_cmp_eq_u32_e64 s3, 0, v5
	v_dual_add_nc_u32 v34, 16, v2 :: v_dual_add_nc_u32 v35, s44, v2
	v_add3_u32 v36, s44, v4, 32
	v_mov_b32_e32 v37, s11
	s_add_nc_u64 s[34:35], s[16:17], s[34:35]
	s_add_nc_u64 s[22:23], s[20:21], 1
	v_lshl_add_u64 v[18:19], v[18:19], 4, s[38:39]
	s_add_nc_u64 s[24:25], s[6:7], -1
	s_mov_b32 s19, s10
	s_cselect_b32 s29, -1, 0
	v_lshl_add_u64 v[0:1], v[0:1], 4, s[4:5]
	s_mul_u64 s[4:5], s[12:13], s[14:15]
	s_lshl_b64 s[16:17], s[12:13], 4
	s_add_nc_u64 s[34:35], s[34:35], s[42:43]
	s_lshl_b64 s[36:37], s[4:5], 4
	v_add_nc_u64_e32 v[0:1], v[0:1], v[2:3]
	s_and_b32 s46, s2, vcc_lo
	s_lshl_b32 s47, s14, 4
	s_mov_b64 s[38:39], 0
	s_delay_alu instid0(VALU_DEP_1) | instskip(SKIP_1) | instid1(VALU_DEP_1)
	v_add_nc_u64_e32 v[0:1], s[8:9], v[0:1]
	s_mov_b64 s[8:9], 0
	v_add_nc_u64_e32 v[20:21], 8, v[0:1]
.LBB6_8:                                ; =>This Loop Header: Depth=1
                                        ;     Child Loop BB6_14 Depth 2
                                        ;     Child Loop BB6_49 Depth 2
	v_mov_b64_e32 v[0:1], v[8:9]
	s_and_not1_b32 vcc_lo, exec_lo, s29
	s_mov_b64 s[40:41], s[18:19]
	s_wait_dscnt 0x0
	s_barrier_signal -1
	s_barrier_wait -1
	s_cbranch_vccz .LBB6_14
.LBB6_9:                                ;   in Loop: Header=BB6_8 Depth=1
	ds_load_b64 v[0:1], v37
	s_wait_dscnt 0x0
	v_lshlrev_b32_e32 v2, 4, v0
	v_readfirstlane_b32 s42, v0
	v_readfirstlane_b32 s43, v1
	s_delay_alu instid0(VALU_DEP_3)
	v_add_nc_u32_e32 v2, 16, v2
	ds_load_2addr_b64 v[4:7], v2 offset1:1
	s_wait_dscnt 0x0
	v_cmp_eq_f64_e32 vcc_lo, 0, v[4:5]
	v_cmp_eq_f64_e64 s4, 0, v[6:7]
	s_and_b32 s4, vcc_lo, s4
	s_delay_alu instid0(SALU_CYCLE_1)
	s_and_not1_b32 vcc_lo, exec_lo, s4
	s_cbranch_vccz .LBB6_19
; %bb.10:                               ;   in Loop: Header=BB6_8 Depth=1
	v_cmp_ngt_f64_e64 s4, |v[4:5]|, |v[6:7]|
	s_and_b32 vcc_lo, exec_lo, s4
	s_cbranch_vccz .LBB6_20
; %bb.11:                               ;   in Loop: Header=BB6_8 Depth=1
	v_div_scale_f64 v[0:1], null, v[6:7], v[6:7], v[4:5]
	v_div_scale_f64 v[26:27], vcc_lo, v[4:5], v[6:7], v[4:5]
	s_delay_alu instid0(VALU_DEP_2) | instskip(SKIP_1) | instid1(TRANS32_DEP_1)
	v_rcp_f64_e32 v[2:3], v[0:1]
	v_nop
	v_fma_f64 v[24:25], -v[0:1], v[2:3], 1.0
	s_delay_alu instid0(VALU_DEP_1) | instskip(NEXT) | instid1(VALU_DEP_1)
	v_fmac_f64_e32 v[2:3], v[2:3], v[24:25]
	v_fma_f64 v[24:25], -v[0:1], v[2:3], 1.0
	s_delay_alu instid0(VALU_DEP_1) | instskip(NEXT) | instid1(VALU_DEP_1)
	v_fmac_f64_e32 v[2:3], v[2:3], v[24:25]
	v_mul_f64_e32 v[24:25], v[26:27], v[2:3]
	s_delay_alu instid0(VALU_DEP_1) | instskip(NEXT) | instid1(VALU_DEP_1)
	v_fma_f64 v[0:1], -v[0:1], v[24:25], v[26:27]
	v_div_fmas_f64 v[0:1], v[0:1], v[2:3], v[24:25]
	s_delay_alu instid0(VALU_DEP_1) | instskip(NEXT) | instid1(VALU_DEP_1)
	v_div_fixup_f64 v[0:1], v[0:1], v[6:7], v[4:5]
	v_fma_f64 v[2:3], v[4:5], v[0:1], v[6:7]
	s_delay_alu instid0(VALU_DEP_1) | instskip(NEXT) | instid1(VALU_DEP_1)
	v_div_scale_f64 v[24:25], null, v[2:3], v[2:3], 1.0
	v_rcp_f64_e32 v[26:27], v[24:25]
	v_nop
	s_delay_alu instid0(TRANS32_DEP_1) | instskip(NEXT) | instid1(VALU_DEP_1)
	v_fma_f64 v[28:29], -v[24:25], v[26:27], 1.0
	v_fmac_f64_e32 v[26:27], v[26:27], v[28:29]
	s_delay_alu instid0(VALU_DEP_1) | instskip(NEXT) | instid1(VALU_DEP_1)
	v_fma_f64 v[28:29], -v[24:25], v[26:27], 1.0
	v_fmac_f64_e32 v[26:27], v[26:27], v[28:29]
	v_div_scale_f64 v[28:29], vcc_lo, 1.0, v[2:3], 1.0
	s_delay_alu instid0(VALU_DEP_1) | instskip(NEXT) | instid1(VALU_DEP_1)
	v_mul_f64_e32 v[30:31], v[28:29], v[26:27]
	v_fma_f64 v[24:25], -v[24:25], v[30:31], v[28:29]
	s_delay_alu instid0(VALU_DEP_1) | instskip(NEXT) | instid1(VALU_DEP_1)
	v_div_fmas_f64 v[24:25], v[24:25], v[26:27], v[30:31]
	v_div_fixup_f64 v[2:3], v[24:25], v[2:3], 1.0
	s_delay_alu instid0(VALU_DEP_1)
	v_mul_f64_e32 v[0:1], v[0:1], v[2:3]
	v_xor_b32_e32 v3, 0x80000000, v3
	s_cbranch_execz .LBB6_21
	s_branch .LBB6_22
.LBB6_12:                               ;   in Loop: Header=BB6_14 Depth=2
	s_or_b32 exec_lo, exec_lo, s4
.LBB6_13:                               ;   in Loop: Header=BB6_14 Depth=2
	s_delay_alu instid0(SALU_CYCLE_1)
	s_or_b32 exec_lo, exec_lo, s5
	v_cmp_lt_u64_e64 s4, s[40:41], 2
	s_lshr_b64 s[40:41], s[40:41], 1
	s_wait_dscnt 0x0
	s_barrier_signal -1
	s_barrier_wait -1
	s_and_b32 vcc_lo, exec_lo, s4
	s_cbranch_vccnz .LBB6_9
.LBB6_14:                               ;   Parent Loop BB6_8 Depth=1
                                        ; =>  This Inner Loop Header: Depth=2
	v_cmp_gt_u64_e32 vcc_lo, s[40:41], v[8:9]
	s_and_b32 s4, s2, vcc_lo
	s_delay_alu instid0(SALU_CYCLE_1)
	s_and_saveexec_b32 s5, s4
	s_cbranch_execz .LBB6_13
; %bb.15:                               ;   in Loop: Header=BB6_14 Depth=2
	s_lshl_b32 s4, s40, 3
	s_mov_b32 s42, exec_lo
	v_dual_add_nc_u32 v2, s4, v32 :: v_dual_add_nc_u32 v4, s4, v33
	ds_load_b64 v[2:3], v2
	ds_load_b64 v[4:5], v4
	s_wait_dscnt 0x1
	v_cmp_lt_f64_e64 s11, v[12:13], v[2:3]
	v_cmpx_nlt_f64_e32 v[12:13], v[2:3]
	s_cbranch_execz .LBB6_17
; %bb.16:                               ;   in Loop: Header=BB6_14 Depth=2
	v_cmp_eq_f64_e32 vcc_lo, v[12:13], v[2:3]
	s_wait_dscnt 0x0
	v_cmp_gt_i64_e64 s4, v[0:1], v[4:5]
	s_and_not1_b32 s11, s11, exec_lo
	s_and_b32 s4, vcc_lo, s4
	s_delay_alu instid0(SALU_CYCLE_1) | instskip(NEXT) | instid1(SALU_CYCLE_1)
	s_and_b32 s4, s4, exec_lo
	s_or_b32 s11, s11, s4
.LBB6_17:                               ;   in Loop: Header=BB6_14 Depth=2
	s_or_b32 exec_lo, exec_lo, s42
	s_and_saveexec_b32 s4, s11
	s_cbranch_execz .LBB6_12
; %bb.18:                               ;   in Loop: Header=BB6_14 Depth=2
	v_mov_b64_e32 v[12:13], v[2:3]
	s_wait_dscnt 0x0
	v_mov_b64_e32 v[0:1], v[4:5]
	ds_store_b64 v32, v[2:3]
	ds_store_b64 v33, v[4:5]
	s_branch .LBB6_12
.LBB6_19:                               ;   in Loop: Header=BB6_8 Depth=1
                                        ; implicit-def: $vgpr2_vgpr3
	s_add_nc_u64 s[40:41], s[38:39], 1
	s_branch .LBB6_23
.LBB6_20:                               ;   in Loop: Header=BB6_8 Depth=1
                                        ; implicit-def: $vgpr2_vgpr3
.LBB6_21:                               ;   in Loop: Header=BB6_8 Depth=1
	v_div_scale_f64 v[0:1], null, v[4:5], v[4:5], v[6:7]
	v_div_scale_f64 v[26:27], vcc_lo, v[6:7], v[4:5], v[6:7]
	s_delay_alu instid0(VALU_DEP_2) | instskip(SKIP_1) | instid1(TRANS32_DEP_1)
	v_rcp_f64_e32 v[2:3], v[0:1]
	v_nop
	v_fma_f64 v[24:25], -v[0:1], v[2:3], 1.0
	s_delay_alu instid0(VALU_DEP_1) | instskip(NEXT) | instid1(VALU_DEP_1)
	v_fmac_f64_e32 v[2:3], v[2:3], v[24:25]
	v_fma_f64 v[24:25], -v[0:1], v[2:3], 1.0
	s_delay_alu instid0(VALU_DEP_1) | instskip(NEXT) | instid1(VALU_DEP_1)
	v_fmac_f64_e32 v[2:3], v[2:3], v[24:25]
	v_mul_f64_e32 v[24:25], v[26:27], v[2:3]
	s_delay_alu instid0(VALU_DEP_1) | instskip(NEXT) | instid1(VALU_DEP_1)
	v_fma_f64 v[0:1], -v[0:1], v[24:25], v[26:27]
	v_div_fmas_f64 v[0:1], v[0:1], v[2:3], v[24:25]
	s_delay_alu instid0(VALU_DEP_1) | instskip(NEXT) | instid1(VALU_DEP_1)
	v_div_fixup_f64 v[2:3], v[0:1], v[4:5], v[6:7]
	v_fma_f64 v[0:1], v[6:7], v[2:3], v[4:5]
	s_delay_alu instid0(VALU_DEP_1) | instskip(NEXT) | instid1(VALU_DEP_1)
	v_div_scale_f64 v[24:25], null, v[0:1], v[0:1], 1.0
	v_rcp_f64_e32 v[26:27], v[24:25]
	v_nop
	s_delay_alu instid0(TRANS32_DEP_1) | instskip(NEXT) | instid1(VALU_DEP_1)
	v_fma_f64 v[28:29], -v[24:25], v[26:27], 1.0
	v_fmac_f64_e32 v[26:27], v[26:27], v[28:29]
	s_delay_alu instid0(VALU_DEP_1) | instskip(NEXT) | instid1(VALU_DEP_1)
	v_fma_f64 v[28:29], -v[24:25], v[26:27], 1.0
	v_fmac_f64_e32 v[26:27], v[26:27], v[28:29]
	v_div_scale_f64 v[28:29], vcc_lo, 1.0, v[0:1], 1.0
	s_delay_alu instid0(VALU_DEP_1) | instskip(NEXT) | instid1(VALU_DEP_1)
	v_mul_f64_e32 v[30:31], v[28:29], v[26:27]
	v_fma_f64 v[24:25], -v[24:25], v[30:31], v[28:29]
	s_delay_alu instid0(VALU_DEP_1) | instskip(NEXT) | instid1(VALU_DEP_1)
	v_div_fmas_f64 v[24:25], v[24:25], v[26:27], v[30:31]
	v_div_fixup_f64 v[0:1], v[24:25], v[0:1], 1.0
	s_delay_alu instid0(VALU_DEP_1)
	v_mul_f64_e64 v[2:3], v[2:3], -v[0:1]
.LBB6_22:                               ;   in Loop: Header=BB6_8 Depth=1
	s_add_nc_u64 s[40:41], s[38:39], 1
	s_cbranch_execnz .LBB6_24
.LBB6_23:                               ;   in Loop: Header=BB6_8 Depth=1
	v_mov_b64_e32 v[0:1], v[4:5]
	v_mov_b64_e32 v[2:3], v[6:7]
	s_add_nc_u64 s[4:5], s[38:39], 1
	s_cmp_eq_u64 s[8:9], 0
	s_mov_b64 s[42:43], s[38:39]
	s_cselect_b32 s9, s5, s9
	s_cselect_b32 s8, s4, s8
.LBB6_24:                               ;   in Loop: Header=BB6_8 Depth=1
	s_and_saveexec_b32 s4, s3
	s_cbranch_execz .LBB6_26
; %bb.25:                               ;   in Loop: Header=BB6_8 Depth=1
	s_add_nc_u64 s[48:49], s[22:23], s[42:43]
	s_delay_alu instid0(SALU_CYCLE_1) | instskip(SKIP_1) | instid1(SALU_CYCLE_1)
	v_mov_b64_e32 v[4:5], s[48:49]
	s_lshl_b64 s[48:49], s[38:39], 3
	s_add_nc_u64 s[48:49], s[34:35], s[48:49]
	global_store_b64 v11, v[4:5], s[48:49]
.LBB6_26:                               ;   in Loop: Header=BB6_8 Depth=1
	s_wait_xcnt 0x0
	s_or_b32 exec_lo, exec_lo, s4
	s_delay_alu instid0(SALU_CYCLE_1)
	s_mov_b32 s5, exec_lo
	v_cmp_eq_u64_e32 vcc_lo, s[42:43], v[8:9]
	v_cmpx_ne_u64_e64 s[42:43], v[8:9]
	s_cbranch_execz .LBB6_30
; %bb.27:                               ;   in Loop: Header=BB6_8 Depth=1
	ds_load_2addr_b64 v[24:27], v34 offset1:1
	v_cmp_le_u64_e64 s4, s[38:39], v[8:9]
	s_and_b32 s4, s0, s4
	s_delay_alu instid0(SALU_CYCLE_1) | instskip(SKIP_3) | instid1(VALU_DEP_2)
	s_and_b32 s11, s2, s4
	s_wait_dscnt 0x0
	v_mul_f64_e32 v[4:5], v[2:3], v[26:27]
	v_mul_f64_e32 v[6:7], v[0:1], v[26:27]
	v_fma_f64 v[4:5], v[0:1], v[24:25], -v[4:5]
	s_delay_alu instid0(VALU_DEP_2)
	v_fmac_f64_e32 v[6:7], v[2:3], v[24:25]
	s_and_saveexec_b32 s4, s11
	s_cbranch_execz .LBB6_29
; %bb.28:                               ;   in Loop: Header=BB6_8 Depth=1
	s_mul_u64 s[48:49], s[38:39], s[12:13]
	s_delay_alu instid0(SALU_CYCLE_1)
	v_lshl_add_u64 v[0:1], s[48:49], 4, v[14:15]
	global_store_b128 v[0:1], v[4:7], off
.LBB6_29:                               ;   in Loop: Header=BB6_8 Depth=1
	s_wait_xcnt 0x0
	s_or_b32 exec_lo, exec_lo, s4
	s_delay_alu instid0(VALU_DEP_2) | instskip(NEXT) | instid1(VALU_DEP_2)
	v_mov_b64_e32 v[0:1], v[4:5]
	v_mov_b64_e32 v[2:3], v[6:7]
.LBB6_30:                               ;   in Loop: Header=BB6_8 Depth=1
	s_or_b32 exec_lo, exec_lo, s5
	v_lshl_add_u64 v[24:25], s[42:43], 4, v[18:19]
	s_and_saveexec_b32 s5, s46
	s_cbranch_execz .LBB6_33
; %bb.31:                               ;   in Loop: Header=BB6_8 Depth=1
	global_load_b128 v[4:7], v[24:25], off
	v_cmp_eq_u64_e64 s4, s[38:39], v[8:9]
	s_wait_loadcnt 0x0
	ds_store_2addr_b64 v35, v[4:5], v[6:7] offset1:1
	s_wait_xcnt 0x0
	s_and_b32 exec_lo, exec_lo, s4
; %bb.32:                               ;   in Loop: Header=BB6_8 Depth=1
	ds_store_b128 v11, v[0:3]
.LBB6_33:                               ;   in Loop: Header=BB6_8 Depth=1
	s_or_b32 exec_lo, exec_lo, s5
	s_cmp_lg_u64 s[42:43], s[38:39]
	s_wait_storecnt_dscnt 0x0
	s_cselect_b32 s4, -1, 0
	s_barrier_signal -1
	s_and_b32 s4, s46, s4
	s_barrier_wait -1
	s_and_saveexec_b32 s11, s4
	s_cbranch_execz .LBB6_41
; %bb.34:                               ;   in Loop: Header=BB6_8 Depth=1
	s_mov_b64 s[4:5], src_shared_base
	v_cmp_ne_u64_e64 s4, s[38:39], v[8:9]
	v_lshl_add_u64 v[26:27], s[38:39], 4, v[18:19]
	v_mov_b64_e32 v[28:29], 0
	v_mov_b64_e32 v[30:31], 0
	s_mov_b32 s48, exec_lo
	s_delay_alu instid0(VALU_DEP_3)
	v_cndmask_b32_e64 v5, s5, v27, s4
	v_cndmask_b32_e64 v4, 0, v26, s4
	flat_load_b128 v[4:7], v[4:5]
	s_wait_xcnt 0x0
	v_cmpx_lt_u64_e64 s[38:39], v[8:9]
	s_cbranch_execz .LBB6_36
; %bb.35:                               ;   in Loop: Header=BB6_8 Depth=1
	ds_load_2addr_b64 v[38:41], v35 offset1:1
	ds_load_b128 v[42:45], v11
	s_wait_dscnt 0x0
	v_mul_f64_e32 v[30:31], v[40:41], v[44:45]
	v_mul_f64_e32 v[28:29], v[38:39], v[44:45]
	s_delay_alu instid0(VALU_DEP_2) | instskip(NEXT) | instid1(VALU_DEP_2)
	v_fma_f64 v[30:31], v[38:39], v[42:43], -v[30:31]
	v_fmac_f64_e32 v[28:29], v[40:41], v[42:43]
.LBB6_36:                               ;   in Loop: Header=BB6_8 Depth=1
	s_or_b32 exec_lo, exec_lo, s48
	s_wait_loadcnt_dscnt 0x0
	s_delay_alu instid0(VALU_DEP_2) | instskip(NEXT) | instid1(VALU_DEP_2)
	v_add_f64_e64 v[4:5], v[4:5], -v[30:31]
	v_add_f64_e64 v[6:7], v[6:7], -v[28:29]
	ds_load_2addr_b64 v[28:31], v35 offset1:1
	s_add_nc_u64 s[48:49], s[38:39], 1
	global_store_b128 v[24:25], v[4:7], off
	s_wait_dscnt 0x0
	global_store_b128 v[26:27], v[28:31], off
	v_cmp_eq_u64_e64 s5, s[48:49], v[8:9]
	s_wait_xcnt 0x0
	s_and_saveexec_b32 s48, s5
	s_cbranch_execz .LBB6_38
; %bb.37:                               ;   in Loop: Header=BB6_8 Depth=1
	s_lshl_b32 s5, s42, 4
	v_xor_b32_e32 v13, 0x80000000, v5
	s_add_co_i32 s5, s5, 16
	v_xor_b32_e32 v24, 0x80000000, v7
	v_mov_b32_e32 v12, s5
	v_cmp_gt_f64_e64 s5, 0, v[4:5]
	ds_store_2addr_b64 v12, v[4:5], v[6:7] offset1:1
	v_cndmask_b32_e64 v5, v5, v13, s5
	v_cmp_gt_f64_e64 s5, 0, v[6:7]
	s_delay_alu instid0(VALU_DEP_1) | instskip(SKIP_1) | instid1(SALU_CYCLE_1)
	v_cndmask_b32_e64 v7, v7, v24, s5
	s_lshl_b32 s5, s42, 3
	s_add_co_i32 s5, s45, s5
	s_delay_alu instid0(VALU_DEP_1) | instid1(SALU_CYCLE_1)
	v_dual_add_f64 v[12:13], v[6:7], v[4:5] :: v_dual_mov_b32 v4, s5
	ds_store_b64 v4, v[12:13]
.LBB6_38:                               ;   in Loop: Header=BB6_8 Depth=1
	s_or_b32 exec_lo, exec_lo, s48
	s_nor_b32 s5, s33, s4
	s_delay_alu instid0(SALU_CYCLE_1)
	s_and_saveexec_b32 s4, s5
	s_cbranch_execz .LBB6_40
; %bb.39:                               ;   in Loop: Header=BB6_8 Depth=1
	s_lshl_b64 s[42:43], s[42:43], 3
	s_delay_alu instid0(SALU_CYCLE_1)
	s_add_nc_u64 s[42:43], s[30:31], s[42:43]
	s_clause 0x1
	global_load_b64 v[4:5], v11, s[42:43]
	global_load_b64 v[6:7], v[16:17], off
	s_wait_loadcnt 0x1
	global_store_b64 v[16:17], v[4:5], off
	s_wait_loadcnt 0x0
	global_store_b64 v11, v[6:7], s[42:43]
.LBB6_40:                               ;   in Loop: Header=BB6_8 Depth=1
	s_wait_xcnt 0x0
	s_or_b32 exec_lo, exec_lo, s4
.LBB6_41:                               ;   in Loop: Header=BB6_8 Depth=1
	s_delay_alu instid0(SALU_CYCLE_1) | instskip(SKIP_2) | instid1(SALU_CYCLE_1)
	s_or_b32 exec_lo, exec_lo, s11
	v_cmp_ge_u64_e64 s4, s[38:39], v[8:9]
	s_or_b32 s5, s1, s4
	s_nor_b32 s11, s5, vcc_lo
	s_delay_alu instid0(SALU_CYCLE_1)
	s_and_saveexec_b32 s5, s11
	s_cbranch_execnz .LBB6_47
; %bb.42:                               ;   in Loop: Header=BB6_8 Depth=1
	s_or_b32 exec_lo, exec_lo, s5
	s_and_b32 s5, s2, s4
	s_delay_alu instid0(SALU_CYCLE_1)
	s_and_saveexec_b32 s4, s5
	s_cbranch_execnz .LBB6_53
.LBB6_43:                               ;   in Loop: Header=BB6_8 Depth=1
	s_or_b32 exec_lo, exec_lo, s4
	s_and_saveexec_b32 s4, s2
.LBB6_44:                               ;   in Loop: Header=BB6_8 Depth=1
	ds_store_b64 v33, v[8:9]
.LBB6_45:                               ;   in Loop: Header=BB6_8 Depth=1
	s_or_b32 exec_lo, exec_lo, s4
	v_add_nc_u64_e32 v[20:21], s[16:17], v[20:21]
	v_add_nc_u32_e32 v36, 16, v36
	s_cmp_eq_u64 s[40:41], s[6:7]
	s_cbranch_scc1 .LBB6_55
; %bb.46:                               ;   in Loop: Header=BB6_8 Depth=1
	s_mov_b64 s[38:39], s[40:41]
	s_branch .LBB6_8
.LBB6_47:                               ;   in Loop: Header=BB6_8 Depth=1
	v_add_nc_u64_e32 v[4:5], s[38:39], v[10:11]
	s_mov_b32 s11, exec_lo
	s_delay_alu instid0(VALU_DEP_1)
	v_cmpx_gt_i64_e64 s[6:7], v[4:5]
	s_cbranch_execz .LBB6_50
; %bb.48:                               ;   in Loop: Header=BB6_8 Depth=1
	v_mov_b64_e32 v[6:7], v[20:21]
	v_mov_b32_e32 v24, v36
	s_mov_b32 s42, 0
.LBB6_49:                               ;   Parent Loop BB6_8 Depth=1
                                        ; =>  This Inner Loop Header: Depth=2
	global_load_b128 v[26:29], v[6:7], off offset:-8
	ds_load_2addr_b64 v[38:41], v24 offset1:1
	v_add_nc_u64_e32 v[4:5], s[14:15], v[4:5]
	v_add_nc_u32_e32 v24, s47, v24
	s_delay_alu instid0(VALU_DEP_2) | instskip(SKIP_4) | instid1(VALU_DEP_2)
	v_cmp_le_i64_e32 vcc_lo, s[6:7], v[4:5]
	s_or_b32 s42, vcc_lo, s42
	s_wait_dscnt 0x0
	v_mul_f64_e32 v[30:31], v[2:3], v[40:41]
	v_mul_f64_e32 v[40:41], v[0:1], v[40:41]
	v_fma_f64 v[30:31], v[0:1], v[38:39], -v[30:31]
	s_delay_alu instid0(VALU_DEP_2) | instskip(SKIP_1) | instid1(VALU_DEP_2)
	v_fmac_f64_e32 v[40:41], v[2:3], v[38:39]
	s_wait_loadcnt 0x0
	v_add_f64_e64 v[26:27], v[26:27], -v[30:31]
	s_delay_alu instid0(VALU_DEP_2)
	v_add_f64_e64 v[28:29], v[28:29], -v[40:41]
	global_store_b128 v[6:7], v[26:29], off offset:-8
	s_wait_xcnt 0x0
	v_add_nc_u64_e32 v[6:7], s[36:37], v[6:7]
	s_and_not1_b32 exec_lo, exec_lo, s42
	s_cbranch_execnz .LBB6_49
.LBB6_50:                               ;   in Loop: Header=BB6_8 Depth=1
	s_or_b32 exec_lo, exec_lo, s11
	v_cmp_lt_i64_e64 s11, s[38:39], s[24:25]
	s_and_b32 s42, s2, s11
	s_delay_alu instid0(SALU_CYCLE_1)
	s_and_saveexec_b32 s11, s42
	s_cbranch_execz .LBB6_52
; %bb.51:                               ;   in Loop: Header=BB6_8 Depth=1
	s_add_nc_u64 s[42:43], s[38:39], 1
	s_lshl_b32 s38, s38, 4
	s_mul_u64 s[42:43], s[42:43], s[12:13]
	s_add_co_i32 s38, s44, s38
	v_lshl_add_u64 v[12:13], s[42:43], 4, v[14:15]
	v_mov_b32_e32 v24, s38
	global_load_b128 v[4:7], v[12:13], off
	ds_load_2addr_b64 v[24:27], v24 offset0:2 offset1:3
	s_wait_dscnt 0x0
	v_mul_f64_e32 v[28:29], v[2:3], v[26:27]
	v_mul_f64_e32 v[26:27], v[0:1], v[26:27]
	s_delay_alu instid0(VALU_DEP_2) | instskip(NEXT) | instid1(VALU_DEP_2)
	v_fma_f64 v[0:1], v[0:1], v[24:25], -v[28:29]
	v_fmac_f64_e32 v[26:27], v[2:3], v[24:25]
	s_wait_loadcnt 0x0
	s_delay_alu instid0(VALU_DEP_2) | instskip(NEXT) | instid1(VALU_DEP_1)
	v_add_f64_e64 v[0:1], v[4:5], -v[0:1]
	v_xor_b32_e32 v4, 0x80000000, v1
	s_delay_alu instid0(VALU_DEP_2) | instskip(NEXT) | instid1(VALU_DEP_4)
	v_cmp_gt_f64_e32 vcc_lo, 0, v[0:1]
	v_add_f64_e64 v[2:3], v[6:7], -v[26:27]
	global_store_b128 v[12:13], v[0:3], off
	ds_store_2addr_b64 v34, v[0:1], v[2:3] offset1:1
	s_wait_xcnt 0x0
	v_cndmask_b32_e32 v1, v1, v4, vcc_lo
	v_cmp_gt_f64_e32 vcc_lo, 0, v[2:3]
	v_xor_b32_e32 v5, 0x80000000, v3
	s_delay_alu instid0(VALU_DEP_1) | instskip(NEXT) | instid1(VALU_DEP_1)
	v_cndmask_b32_e32 v3, v3, v5, vcc_lo
	v_add_f64_e32 v[12:13], v[0:1], v[2:3]
	ds_store_b64 v32, v[12:13]
.LBB6_52:                               ;   in Loop: Header=BB6_8 Depth=1
	s_or_b32 exec_lo, exec_lo, s11
	s_delay_alu instid0(SALU_CYCLE_1) | instskip(SKIP_1) | instid1(SALU_CYCLE_1)
	s_or_b32 exec_lo, exec_lo, s5
	s_and_b32 s5, s2, s4
	s_and_saveexec_b32 s4, s5
	s_cbranch_execz .LBB6_43
.LBB6_53:                               ;   in Loop: Header=BB6_8 Depth=1
	s_mov_b32 s11, s10
	s_mov_b32 s38, s10
	;; [unrolled: 1-line block ×3, first 2 shown]
	v_mov_b64_e32 v[0:1], s[10:11]
	v_mov_b64_e32 v[12:13], 0
	;; [unrolled: 1-line block ×3, first 2 shown]
	ds_store_2addr_b64 v34, v[0:1], v[2:3] offset1:1
	ds_store_b64 v32, v[22:23]
	s_or_b32 exec_lo, exec_lo, s4
	s_and_saveexec_b32 s4, s2
	s_cbranch_execnz .LBB6_44
	s_branch .LBB6_45
.LBB6_54:
	s_mov_b64 s[8:9], 0
.LBB6_55:
	s_mov_b32 s1, 0
	s_mov_b32 s0, exec_lo
	v_cmpx_eq_u32_e32 0, v8
	s_cbranch_execz .LBB6_58
; %bb.56:
	v_mov_b32_e32 v0, s28
	v_cmp_gt_i64_e64 s0, s[8:9], 0
	s_wait_kmcnt 0x0
	global_load_b64 v[0:1], v0, s[26:27] scale_offset
	s_wait_loadcnt 0x0
	v_readfirstlane_b32 s4, v0
	v_readfirstlane_b32 s5, v1
	s_cmp_eq_u64 s[4:5], 0
	s_cselect_b32 s3, -1, 0
	s_delay_alu instid0(SALU_CYCLE_1) | instskip(NEXT) | instid1(SALU_CYCLE_1)
	s_and_b32 s0, s3, s0
	s_and_b32 s0, s2, s0
	s_wait_xcnt 0x0
	s_and_b32 exec_lo, exec_lo, s0
	s_cbranch_execz .LBB6_58
; %bb.57:
	s_add_nc_u64 s[2:3], s[8:9], s[20:21]
	v_mov_b32_e32 v2, 0
	v_mov_b64_e32 v[0:1], s[2:3]
	s_lshl_b32 s0, s28, 3
	s_delay_alu instid0(SALU_CYCLE_1)
	s_add_nc_u64 s[0:1], s[26:27], s[0:1]
	global_store_b64 v2, v[0:1], s[0:1]
.LBB6_58:
	s_endpgm
	.section	.rodata,"a",@progbits
	.p2align	6, 0x0
	.amdhsa_kernel _ZN9rocsolver6v33100L18getf2_panel_kernelI19rocblas_complex_numIdEllPS3_EEvT0_S5_T2_lS5_lPS5_llPT1_S5_S5_S7_l
		.amdhsa_group_segment_fixed_size 16
		.amdhsa_private_segment_fixed_size 0
		.amdhsa_kernarg_size 368
		.amdhsa_user_sgpr_count 2
		.amdhsa_user_sgpr_dispatch_ptr 0
		.amdhsa_user_sgpr_queue_ptr 0
		.amdhsa_user_sgpr_kernarg_segment_ptr 1
		.amdhsa_user_sgpr_dispatch_id 0
		.amdhsa_user_sgpr_kernarg_preload_length 0
		.amdhsa_user_sgpr_kernarg_preload_offset 0
		.amdhsa_user_sgpr_private_segment_size 0
		.amdhsa_wavefront_size32 1
		.amdhsa_uses_dynamic_stack 0
		.amdhsa_enable_private_segment 0
		.amdhsa_system_sgpr_workgroup_id_x 1
		.amdhsa_system_sgpr_workgroup_id_y 0
		.amdhsa_system_sgpr_workgroup_id_z 1
		.amdhsa_system_sgpr_workgroup_info 0
		.amdhsa_system_vgpr_workitem_id 1
		.amdhsa_next_free_vgpr 46
		.amdhsa_next_free_sgpr 50
		.amdhsa_named_barrier_count 0
		.amdhsa_reserve_vcc 1
		.amdhsa_float_round_mode_32 0
		.amdhsa_float_round_mode_16_64 0
		.amdhsa_float_denorm_mode_32 3
		.amdhsa_float_denorm_mode_16_64 3
		.amdhsa_fp16_overflow 0
		.amdhsa_memory_ordered 1
		.amdhsa_forward_progress 1
		.amdhsa_inst_pref_size 23
		.amdhsa_round_robin_scheduling 0
		.amdhsa_exception_fp_ieee_invalid_op 0
		.amdhsa_exception_fp_denorm_src 0
		.amdhsa_exception_fp_ieee_div_zero 0
		.amdhsa_exception_fp_ieee_overflow 0
		.amdhsa_exception_fp_ieee_underflow 0
		.amdhsa_exception_fp_ieee_inexact 0
		.amdhsa_exception_int_div_zero 0
	.end_amdhsa_kernel
	.section	.text._ZN9rocsolver6v33100L18getf2_panel_kernelI19rocblas_complex_numIdEllPS3_EEvT0_S5_T2_lS5_lPS5_llPT1_S5_S5_S7_l,"axG",@progbits,_ZN9rocsolver6v33100L18getf2_panel_kernelI19rocblas_complex_numIdEllPS3_EEvT0_S5_T2_lS5_lPS5_llPT1_S5_S5_S7_l,comdat
.Lfunc_end6:
	.size	_ZN9rocsolver6v33100L18getf2_panel_kernelI19rocblas_complex_numIdEllPS3_EEvT0_S5_T2_lS5_lPS5_llPT1_S5_S5_S7_l, .Lfunc_end6-_ZN9rocsolver6v33100L18getf2_panel_kernelI19rocblas_complex_numIdEllPS3_EEvT0_S5_T2_lS5_lPS5_llPT1_S5_S5_S7_l
                                        ; -- End function
	.set _ZN9rocsolver6v33100L18getf2_panel_kernelI19rocblas_complex_numIdEllPS3_EEvT0_S5_T2_lS5_lPS5_llPT1_S5_S5_S7_l.num_vgpr, 46
	.set _ZN9rocsolver6v33100L18getf2_panel_kernelI19rocblas_complex_numIdEllPS3_EEvT0_S5_T2_lS5_lPS5_llPT1_S5_S5_S7_l.num_agpr, 0
	.set _ZN9rocsolver6v33100L18getf2_panel_kernelI19rocblas_complex_numIdEllPS3_EEvT0_S5_T2_lS5_lPS5_llPT1_S5_S5_S7_l.numbered_sgpr, 50
	.set _ZN9rocsolver6v33100L18getf2_panel_kernelI19rocblas_complex_numIdEllPS3_EEvT0_S5_T2_lS5_lPS5_llPT1_S5_S5_S7_l.num_named_barrier, 0
	.set _ZN9rocsolver6v33100L18getf2_panel_kernelI19rocblas_complex_numIdEllPS3_EEvT0_S5_T2_lS5_lPS5_llPT1_S5_S5_S7_l.private_seg_size, 0
	.set _ZN9rocsolver6v33100L18getf2_panel_kernelI19rocblas_complex_numIdEllPS3_EEvT0_S5_T2_lS5_lPS5_llPT1_S5_S5_S7_l.uses_vcc, 1
	.set _ZN9rocsolver6v33100L18getf2_panel_kernelI19rocblas_complex_numIdEllPS3_EEvT0_S5_T2_lS5_lPS5_llPT1_S5_S5_S7_l.uses_flat_scratch, 0
	.set _ZN9rocsolver6v33100L18getf2_panel_kernelI19rocblas_complex_numIdEllPS3_EEvT0_S5_T2_lS5_lPS5_llPT1_S5_S5_S7_l.has_dyn_sized_stack, 0
	.set _ZN9rocsolver6v33100L18getf2_panel_kernelI19rocblas_complex_numIdEllPS3_EEvT0_S5_T2_lS5_lPS5_llPT1_S5_S5_S7_l.has_recursion, 0
	.set _ZN9rocsolver6v33100L18getf2_panel_kernelI19rocblas_complex_numIdEllPS3_EEvT0_S5_T2_lS5_lPS5_llPT1_S5_S5_S7_l.has_indirect_call, 0
	.section	.AMDGPU.csdata,"",@progbits
; Kernel info:
; codeLenInByte = 2820
; TotalNumSgprs: 52
; NumVgprs: 46
; ScratchSize: 0
; MemoryBound: 1
; FloatMode: 240
; IeeeMode: 1
; LDSByteSize: 16 bytes/workgroup (compile time only)
; SGPRBlocks: 0
; VGPRBlocks: 2
; NumSGPRsForWavesPerEU: 52
; NumVGPRsForWavesPerEU: 46
; NamedBarCnt: 0
; Occupancy: 16
; WaveLimiterHint : 0
; COMPUTE_PGM_RSRC2:SCRATCH_EN: 0
; COMPUTE_PGM_RSRC2:USER_SGPR: 2
; COMPUTE_PGM_RSRC2:TRAP_HANDLER: 0
; COMPUTE_PGM_RSRC2:TGID_X_EN: 1
; COMPUTE_PGM_RSRC2:TGID_Y_EN: 0
; COMPUTE_PGM_RSRC2:TGID_Z_EN: 1
; COMPUTE_PGM_RSRC2:TIDIG_COMP_CNT: 1
	.section	.text._ZN9rocsolver6v33100L23getf2_npvt_panel_kernelI19rocblas_complex_numIdEllPS3_EEvT0_S5_T2_lS5_lPT1_S5_S5_,"axG",@progbits,_ZN9rocsolver6v33100L23getf2_npvt_panel_kernelI19rocblas_complex_numIdEllPS3_EEvT0_S5_T2_lS5_lPT1_S5_S5_,comdat
	.globl	_ZN9rocsolver6v33100L23getf2_npvt_panel_kernelI19rocblas_complex_numIdEllPS3_EEvT0_S5_T2_lS5_lPT1_S5_S5_ ; -- Begin function _ZN9rocsolver6v33100L23getf2_npvt_panel_kernelI19rocblas_complex_numIdEllPS3_EEvT0_S5_T2_lS5_lPT1_S5_S5_
	.p2align	8
	.type	_ZN9rocsolver6v33100L23getf2_npvt_panel_kernelI19rocblas_complex_numIdEllPS3_EEvT0_S5_T2_lS5_lPT1_S5_S5_,@function
_ZN9rocsolver6v33100L23getf2_npvt_panel_kernelI19rocblas_complex_numIdEllPS3_EEvT0_S5_T2_lS5_lPT1_S5_S5_: ; @_ZN9rocsolver6v33100L23getf2_npvt_panel_kernelI19rocblas_complex_numIdEllPS3_EEvT0_S5_T2_lS5_lPT1_S5_S5_
; %bb.0:
	s_clause 0x2
	s_load_b256 s[8:15], s[0:1], 0x20
	s_load_b256 s[16:23], s[0:1], 0x0
	s_load_b32 s3, s[0:1], 0x54
	s_bfe_u32 s2, ttmp6, 0x40014
	s_lshr_b32 s4, ttmp7, 16
	s_add_co_i32 s2, s2, 1
	s_bfe_u32 s5, ttmp6, 0x40008
	s_mul_i32 s2, s4, s2
	s_getreg_b32 s6, hwreg(HW_REG_IB_STS2, 6, 4)
	s_add_co_i32 s5, s5, s2
	s_cmp_eq_u32 s6, 0
	s_mov_b32 s7, 0
	v_bfe_u32 v8, v0, 10, 10
	s_cselect_b32 s6, s4, s5
	v_mov_b32_e32 v5, 0
	v_and_b32_e32 v4, 0x3ff, v0
	s_delay_alu instid0(VALU_DEP_3) | instskip(SKIP_4) | instid1(SALU_CYCLE_1)
	v_cmp_eq_u32_e64 s2, 0, v8
	s_wait_kmcnt 0x0
	s_mul_u64 s[4:5], s[10:11], s[6:7]
	s_lshl_b64 s[14:15], s[22:23], 4
	s_lshl_b64 s[10:11], s[4:5], 4
	s_add_nc_u64 s[4:5], s[20:21], s[10:11]
	s_delay_alu instid0(SALU_CYCLE_1)
	s_add_nc_u64 s[4:5], s[4:5], s[14:15]
	s_and_saveexec_b32 s7, s2
	s_cbranch_execz .LBB7_4
; %bb.1:
	v_mov_b64_e32 v[0:1], 0
	v_mov_b64_e32 v[2:3], 0
	s_mov_b32 s22, exec_lo
	v_cmpx_gt_i64_e64 s[16:17], v[4:5]
	s_cbranch_execz .LBB7_3
; %bb.2:
	global_load_b128 v[0:3], v4, s[4:5] scale_offset
.LBB7_3:
	s_wait_xcnt 0x0
	s_or_b32 exec_lo, exec_lo, s22
	v_lshl_add_u32 v6, v4, 4, 0
	s_wait_loadcnt 0x0
	ds_store_2addr_b64 v6, v[0:1], v[2:3] offset1:1
.LBB7_4:
	s_or_b32 exec_lo, exec_lo, s7
	v_cmp_lt_i64_e64 s7, s[18:19], 1
	s_and_b32 vcc_lo, exec_lo, s7
	s_cbranch_vccnz .LBB7_30
; %bb.5:
	v_dual_mov_b32 v1, 0 :: v_dual_add_nc_u32 v6, 2, v8
	v_mul_u64_e32 v[10:11], s[8:9], v[4:5]
	s_add_nc_u64 s[10:11], s[14:15], s[10:11]
	s_and_b32 s7, s3, 0xffff
	s_delay_alu instid0(VALU_DEP_2) | instskip(SKIP_3) | instid1(VALU_DEP_3)
	v_dual_mov_b32 v7, v1 :: v_dual_lshlrev_b32 v0, 4, v4
	v_lshlrev_b32_e32 v14, 4, v8
	v_cmp_gt_u64_e32 vcc_lo, s[18:19], v[4:5]
	s_lshl_b32 s7, s7, 4
	v_mul_u64_e32 v[2:3], s[8:9], v[6:7]
	s_mov_b32 s14, 0
	s_lshr_b32 s22, s3, 16
	v_cmp_gt_i64_e64 s3, s[16:17], v[4:5]
	s_add_co_i32 s7, s7, 0
	v_add_nc_u64_e32 v[8:9], s[4:5], v[0:1]
	s_mov_b32 s23, s14
	v_dual_add_nc_u32 v18, 0, v0 :: v_dual_add_nc_u32 v19, s7, v0
	v_add3_u32 v20, s7, v14, 32
	s_add_nc_u64 s[16:17], s[18:19], -1
	s_and_b32 s28, s2, vcc_lo
	s_lshl_b32 s29, s22, 4
	s_mov_b64 s[26:27], 0
	v_lshl_add_u64 v[10:11], v[10:11], 4, s[4:5]
	v_lshl_add_u64 v[2:3], v[2:3], 4, s[10:11]
	s_mul_u64 s[10:11], s[8:9], s[22:23]
	s_delay_alu instid0(SALU_CYCLE_1) | instskip(SKIP_1) | instid1(VALU_DEP_1)
	s_lshl_b64 s[24:25], s[10:11], 4
	s_mov_b64 s[10:11], 0
	v_add_nc_u64_e32 v[2:3], v[2:3], v[0:1]
	s_delay_alu instid0(VALU_DEP_1) | instskip(SKIP_1) | instid1(VALU_DEP_1)
	v_add_nc_u64_e32 v[2:3], s[20:21], v[2:3]
	s_lshl_b64 s[20:21], s[8:9], 4
	v_add_nc_u64_e32 v[12:13], 8, v[2:3]
.LBB7_6:                                ; =>This Loop Header: Depth=1
                                        ;     Child Loop BB7_20 Depth 2
	s_lshl_b32 s15, s26, 4
	s_wait_dscnt 0x0
	s_add_co_i32 s4, s15, 0
	s_barrier_signal -1
	v_mov_b32_e32 v0, s4
	s_barrier_wait -1
	ds_load_2addr_b64 v[0:3], v0 offset1:1
	s_wait_dscnt 0x0
	v_cmp_eq_f64_e32 vcc_lo, 0, v[0:1]
	v_cmp_eq_f64_e64 s4, 0, v[2:3]
	s_and_b32 s4, vcc_lo, s4
	s_cmp_eq_u64 s[10:11], 0
	s_cselect_b32 s5, -1, 0
	s_delay_alu instid0(SALU_CYCLE_1) | instskip(NEXT) | instid1(SALU_CYCLE_1)
	s_and_b32 s4, s4, s5
	s_and_not1_b32 vcc_lo, exec_lo, s4
	s_cbranch_vccz .LBB7_9
; %bb.7:                                ;   in Loop: Header=BB7_6 Depth=1
	v_cmp_ngt_f64_e64 s4, |v[0:1]|, |v[2:3]|
	s_and_b32 vcc_lo, exec_lo, s4
	s_cbranch_vccz .LBB7_10
; %bb.8:                                ;   in Loop: Header=BB7_6 Depth=1
	v_div_scale_f64 v[14:15], null, v[2:3], v[2:3], v[0:1]
	v_div_scale_f64 v[24:25], vcc_lo, v[0:1], v[2:3], v[0:1]
	s_delay_alu instid0(VALU_DEP_2) | instskip(SKIP_1) | instid1(TRANS32_DEP_1)
	v_rcp_f64_e32 v[16:17], v[14:15]
	v_nop
	v_fma_f64 v[22:23], -v[14:15], v[16:17], 1.0
	s_delay_alu instid0(VALU_DEP_1) | instskip(NEXT) | instid1(VALU_DEP_1)
	v_fmac_f64_e32 v[16:17], v[16:17], v[22:23]
	v_fma_f64 v[22:23], -v[14:15], v[16:17], 1.0
	s_delay_alu instid0(VALU_DEP_1) | instskip(NEXT) | instid1(VALU_DEP_1)
	v_fmac_f64_e32 v[16:17], v[16:17], v[22:23]
	v_mul_f64_e32 v[22:23], v[24:25], v[16:17]
	s_delay_alu instid0(VALU_DEP_1) | instskip(NEXT) | instid1(VALU_DEP_1)
	v_fma_f64 v[14:15], -v[14:15], v[22:23], v[24:25]
	v_div_fmas_f64 v[14:15], v[14:15], v[16:17], v[22:23]
	s_delay_alu instid0(VALU_DEP_1) | instskip(NEXT) | instid1(VALU_DEP_1)
	v_div_fixup_f64 v[16:17], v[14:15], v[2:3], v[0:1]
	v_fma_f64 v[14:15], v[0:1], v[16:17], v[2:3]
	s_delay_alu instid0(VALU_DEP_1) | instskip(NEXT) | instid1(VALU_DEP_1)
	v_div_scale_f64 v[22:23], null, v[14:15], v[14:15], 1.0
	v_rcp_f64_e32 v[24:25], v[22:23]
	v_nop
	s_delay_alu instid0(TRANS32_DEP_1) | instskip(NEXT) | instid1(VALU_DEP_1)
	v_fma_f64 v[26:27], -v[22:23], v[24:25], 1.0
	v_fmac_f64_e32 v[24:25], v[24:25], v[26:27]
	s_delay_alu instid0(VALU_DEP_1) | instskip(NEXT) | instid1(VALU_DEP_1)
	v_fma_f64 v[26:27], -v[22:23], v[24:25], 1.0
	v_fmac_f64_e32 v[24:25], v[24:25], v[26:27]
	v_div_scale_f64 v[26:27], vcc_lo, 1.0, v[14:15], 1.0
	s_delay_alu instid0(VALU_DEP_1) | instskip(NEXT) | instid1(VALU_DEP_1)
	v_mul_f64_e32 v[28:29], v[26:27], v[24:25]
	v_fma_f64 v[22:23], -v[22:23], v[28:29], v[26:27]
	s_delay_alu instid0(VALU_DEP_1) | instskip(NEXT) | instid1(VALU_DEP_1)
	v_div_fmas_f64 v[22:23], v[22:23], v[24:25], v[28:29]
	v_div_fixup_f64 v[14:15], v[22:23], v[14:15], 1.0
	s_delay_alu instid0(VALU_DEP_1)
	v_mul_f64_e32 v[16:17], v[16:17], v[14:15]
	v_xor_b32_e32 v15, 0x80000000, v15
	s_cbranch_execz .LBB7_11
	s_branch .LBB7_12
.LBB7_9:                                ;   in Loop: Header=BB7_6 Depth=1
                                        ; implicit-def: $vgpr14_vgpr15
                                        ; implicit-def: $vgpr16_vgpr17
	s_add_nc_u64 s[4:5], s[26:27], 1
	s_branch .LBB7_13
.LBB7_10:                               ;   in Loop: Header=BB7_6 Depth=1
                                        ; implicit-def: $vgpr14_vgpr15
                                        ; implicit-def: $vgpr16_vgpr17
.LBB7_11:                               ;   in Loop: Header=BB7_6 Depth=1
	v_div_scale_f64 v[14:15], null, v[0:1], v[0:1], v[2:3]
	v_div_scale_f64 v[24:25], vcc_lo, v[2:3], v[0:1], v[2:3]
	s_delay_alu instid0(VALU_DEP_2) | instskip(SKIP_1) | instid1(TRANS32_DEP_1)
	v_rcp_f64_e32 v[16:17], v[14:15]
	v_nop
	v_fma_f64 v[22:23], -v[14:15], v[16:17], 1.0
	s_delay_alu instid0(VALU_DEP_1) | instskip(NEXT) | instid1(VALU_DEP_1)
	v_fmac_f64_e32 v[16:17], v[16:17], v[22:23]
	v_fma_f64 v[22:23], -v[14:15], v[16:17], 1.0
	s_delay_alu instid0(VALU_DEP_1) | instskip(NEXT) | instid1(VALU_DEP_1)
	v_fmac_f64_e32 v[16:17], v[16:17], v[22:23]
	v_mul_f64_e32 v[22:23], v[24:25], v[16:17]
	s_delay_alu instid0(VALU_DEP_1) | instskip(NEXT) | instid1(VALU_DEP_1)
	v_fma_f64 v[14:15], -v[14:15], v[22:23], v[24:25]
	v_div_fmas_f64 v[14:15], v[14:15], v[16:17], v[22:23]
	s_delay_alu instid0(VALU_DEP_1) | instskip(NEXT) | instid1(VALU_DEP_1)
	v_div_fixup_f64 v[14:15], v[14:15], v[0:1], v[2:3]
	v_fma_f64 v[16:17], v[2:3], v[14:15], v[0:1]
	s_delay_alu instid0(VALU_DEP_1) | instskip(NEXT) | instid1(VALU_DEP_1)
	v_div_scale_f64 v[22:23], null, v[16:17], v[16:17], 1.0
	v_rcp_f64_e32 v[24:25], v[22:23]
	v_nop
	s_delay_alu instid0(TRANS32_DEP_1) | instskip(NEXT) | instid1(VALU_DEP_1)
	v_fma_f64 v[26:27], -v[22:23], v[24:25], 1.0
	v_fmac_f64_e32 v[24:25], v[24:25], v[26:27]
	s_delay_alu instid0(VALU_DEP_1) | instskip(NEXT) | instid1(VALU_DEP_1)
	v_fma_f64 v[26:27], -v[22:23], v[24:25], 1.0
	v_fmac_f64_e32 v[24:25], v[24:25], v[26:27]
	v_div_scale_f64 v[26:27], vcc_lo, 1.0, v[16:17], 1.0
	s_delay_alu instid0(VALU_DEP_1) | instskip(NEXT) | instid1(VALU_DEP_1)
	v_mul_f64_e32 v[28:29], v[26:27], v[24:25]
	v_fma_f64 v[22:23], -v[22:23], v[28:29], v[26:27]
	s_delay_alu instid0(VALU_DEP_1) | instskip(NEXT) | instid1(VALU_DEP_1)
	v_div_fmas_f64 v[22:23], v[22:23], v[24:25], v[28:29]
	v_div_fixup_f64 v[16:17], v[22:23], v[16:17], 1.0
	s_delay_alu instid0(VALU_DEP_1)
	v_mul_f64_e64 v[14:15], v[14:15], -v[16:17]
.LBB7_12:                               ;   in Loop: Header=BB7_6 Depth=1
	s_add_nc_u64 s[4:5], s[26:27], 1
	s_cbranch_execnz .LBB7_14
.LBB7_13:                               ;   in Loop: Header=BB7_6 Depth=1
	v_mov_b64_e32 v[16:17], v[0:1]
	v_mov_b64_e32 v[14:15], v[2:3]
	s_add_nc_u64 s[10:11], s[26:27], 1
.LBB7_14:                               ;   in Loop: Header=BB7_6 Depth=1
	s_mov_b32 s30, exec_lo
	v_cmpx_ne_u64_e64 s[26:27], v[4:5]
	s_cbranch_execnz .LBB7_27
; %bb.15:                               ;   in Loop: Header=BB7_6 Depth=1
	s_or_b32 exec_lo, exec_lo, s30
	s_and_saveexec_b32 s30, s28
	s_cbranch_execz .LBB7_17
.LBB7_16:                               ;   in Loop: Header=BB7_6 Depth=1
	v_lshl_add_u64 v[0:1], s[26:27], 4, v[10:11]
	global_load_b128 v[0:3], v[0:1], off
	s_wait_loadcnt 0x0
	ds_store_2addr_b64 v19, v[0:1], v[2:3] offset1:1
.LBB7_17:                               ;   in Loop: Header=BB7_6 Depth=1
	s_wait_xcnt 0x0
	s_or_b32 exec_lo, exec_lo, s30
	v_cmp_lt_u64_e32 vcc_lo, s[26:27], v[4:5]
	s_wait_storecnt_dscnt 0x0
	s_barrier_signal -1
	s_barrier_wait -1
	s_and_b32 s31, s3, vcc_lo
	s_delay_alu instid0(SALU_CYCLE_1)
	s_and_saveexec_b32 s30, s31
	s_cbranch_execz .LBB7_23
; %bb.18:                               ;   in Loop: Header=BB7_6 Depth=1
	v_add_nc_u64_e32 v[0:1], s[26:27], v[6:7]
	s_mov_b32 s31, exec_lo
	s_delay_alu instid0(VALU_DEP_1)
	v_cmpx_gt_i64_e64 s[18:19], v[0:1]
	s_cbranch_execz .LBB7_21
; %bb.19:                               ;   in Loop: Header=BB7_6 Depth=1
	v_mov_b64_e32 v[2:3], v[12:13]
	v_mov_b32_e32 v21, v20
	s_mov_b32 s33, 0
.LBB7_20:                               ;   Parent Loop BB7_6 Depth=1
                                        ; =>  This Inner Loop Header: Depth=2
	global_load_b128 v[22:25], v[2:3], off offset:-8
	ds_load_2addr_b64 v[26:29], v21 offset1:1
	v_add_nc_u64_e32 v[0:1], s[22:23], v[0:1]
	v_add_nc_u32_e32 v21, s29, v21
	s_delay_alu instid0(VALU_DEP_2) | instskip(SKIP_4) | instid1(VALU_DEP_2)
	v_cmp_le_i64_e32 vcc_lo, s[18:19], v[0:1]
	s_or_b32 s33, vcc_lo, s33
	s_wait_dscnt 0x0
	v_mul_f64_e32 v[30:31], v[14:15], v[28:29]
	v_mul_f64_e32 v[28:29], v[16:17], v[28:29]
	v_fma_f64 v[30:31], v[16:17], v[26:27], -v[30:31]
	s_delay_alu instid0(VALU_DEP_2) | instskip(SKIP_1) | instid1(VALU_DEP_2)
	v_fmac_f64_e32 v[28:29], v[14:15], v[26:27]
	s_wait_loadcnt 0x0
	v_add_f64_e64 v[22:23], v[22:23], -v[30:31]
	s_delay_alu instid0(VALU_DEP_2)
	v_add_f64_e64 v[24:25], v[24:25], -v[28:29]
	global_store_b128 v[2:3], v[22:25], off offset:-8
	s_wait_xcnt 0x0
	v_add_nc_u64_e32 v[2:3], s[24:25], v[2:3]
	s_and_not1_b32 exec_lo, exec_lo, s33
	s_cbranch_execnz .LBB7_20
.LBB7_21:                               ;   in Loop: Header=BB7_6 Depth=1
	s_or_b32 exec_lo, exec_lo, s31
	v_cmp_lt_i64_e64 s31, s[26:27], s[16:17]
	s_and_b32 s31, s2, s31
	s_delay_alu instid0(SALU_CYCLE_1)
	s_and_b32 exec_lo, exec_lo, s31
	s_cbranch_execz .LBB7_23
; %bb.22:                               ;   in Loop: Header=BB7_6 Depth=1
	s_add_nc_u64 s[34:35], s[26:27], 1
	s_add_co_i32 s15, s7, s15
	s_mul_u64 s[34:35], s[34:35], s[8:9]
	v_mov_b32_e32 v21, s15
	v_lshl_add_u64 v[26:27], s[34:35], 4, v[8:9]
	ds_load_2addr_b64 v[22:25], v21 offset0:2 offset1:3
	global_load_b128 v[0:3], v[26:27], off
	s_wait_dscnt 0x0
	v_mul_f64_e32 v[28:29], v[14:15], v[24:25]
	v_mul_f64_e32 v[24:25], v[16:17], v[24:25]
	s_delay_alu instid0(VALU_DEP_2) | instskip(NEXT) | instid1(VALU_DEP_2)
	v_fma_f64 v[16:17], v[16:17], v[22:23], -v[28:29]
	v_fmac_f64_e32 v[24:25], v[14:15], v[22:23]
	s_wait_loadcnt 0x0
	s_delay_alu instid0(VALU_DEP_2) | instskip(NEXT) | instid1(VALU_DEP_2)
	v_add_f64_e64 v[0:1], v[0:1], -v[16:17]
	v_add_f64_e64 v[2:3], v[2:3], -v[24:25]
	global_store_b128 v[26:27], v[0:3], off
	ds_store_2addr_b64 v18, v[0:1], v[2:3] offset1:1
.LBB7_23:                               ;   in Loop: Header=BB7_6 Depth=1
	s_wait_xcnt 0x0
	s_or_b32 exec_lo, exec_lo, s30
	v_cmp_ge_u64_e32 vcc_lo, s[26:27], v[4:5]
	s_and_b32 s15, s2, vcc_lo
	s_delay_alu instid0(SALU_CYCLE_1)
	s_and_saveexec_b32 s26, s15
	s_cbranch_execz .LBB7_25
; %bb.24:                               ;   in Loop: Header=BB7_6 Depth=1
	s_mov_b32 s15, s14
	s_mov_b32 s30, s14
	;; [unrolled: 1-line block ×3, first 2 shown]
	v_mov_b64_e32 v[0:1], s[14:15]
	v_mov_b64_e32 v[2:3], s[30:31]
	ds_store_2addr_b64 v18, v[0:1], v[2:3] offset1:1
.LBB7_25:                               ;   in Loop: Header=BB7_6 Depth=1
	s_or_b32 exec_lo, exec_lo, s26
	v_add_nc_u64_e32 v[12:13], s[20:21], v[12:13]
	v_add_nc_u32_e32 v20, 16, v20
	s_cmp_eq_u64 s[4:5], s[18:19]
	s_cbranch_scc1 .LBB7_31
; %bb.26:                               ;   in Loop: Header=BB7_6 Depth=1
	s_mov_b64 s[26:27], s[4:5]
	s_branch .LBB7_6
.LBB7_27:                               ;   in Loop: Header=BB7_6 Depth=1
	ds_load_2addr_b64 v[22:25], v18 offset1:1
	v_cmp_le_u64_e32 vcc_lo, s[26:27], v[4:5]
	s_and_b32 s31, s3, vcc_lo
	s_delay_alu instid0(SALU_CYCLE_1) | instskip(SKIP_3) | instid1(VALU_DEP_2)
	s_and_b32 s33, s2, s31
	s_wait_dscnt 0x0
	v_mul_f64_e32 v[0:1], v[14:15], v[24:25]
	v_mul_f64_e32 v[2:3], v[16:17], v[24:25]
	v_fma_f64 v[0:1], v[16:17], v[22:23], -v[0:1]
	s_delay_alu instid0(VALU_DEP_2)
	v_fmac_f64_e32 v[2:3], v[14:15], v[22:23]
	s_and_saveexec_b32 s31, s33
	s_cbranch_execz .LBB7_29
; %bb.28:                               ;   in Loop: Header=BB7_6 Depth=1
	s_mul_u64 s[34:35], s[26:27], s[8:9]
	s_delay_alu instid0(SALU_CYCLE_1)
	v_lshl_add_u64 v[14:15], s[34:35], 4, v[8:9]
	global_store_b128 v[14:15], v[0:3], off
.LBB7_29:                               ;   in Loop: Header=BB7_6 Depth=1
	s_wait_xcnt 0x0
	s_or_b32 exec_lo, exec_lo, s31
	s_delay_alu instid0(VALU_DEP_2) | instskip(NEXT) | instid1(VALU_DEP_2)
	v_mov_b64_e32 v[16:17], v[0:1]
	v_mov_b64_e32 v[14:15], v[2:3]
	s_or_b32 exec_lo, exec_lo, s30
	s_and_saveexec_b32 s30, s28
	s_cbranch_execnz .LBB7_16
	s_branch .LBB7_17
.LBB7_30:
	s_mov_b64 s[10:11], 0
.LBB7_31:
	s_mov_b32 s3, 0
	s_mov_b32 s4, exec_lo
	v_cmpx_eq_u32_e32 0, v4
	s_cbranch_execz .LBB7_34
; %bb.32:
	v_mov_b32_e32 v0, s6
	v_cmp_gt_i64_e64 s7, s[10:11], 0
	global_load_b64 v[0:1], v0, s[12:13] scale_offset
	s_wait_loadcnt 0x0
	v_readfirstlane_b32 s4, v0
	v_readfirstlane_b32 s5, v1
	s_cmp_eq_u64 s[4:5], 0
	s_cselect_b32 s4, -1, 0
	s_delay_alu instid0(SALU_CYCLE_1) | instskip(NEXT) | instid1(SALU_CYCLE_1)
	s_and_b32 s4, s4, s7
	s_and_b32 s2, s2, s4
	s_wait_xcnt 0x0
	s_and_b32 exec_lo, exec_lo, s2
	s_cbranch_execz .LBB7_34
; %bb.33:
	s_load_b64 s[0:1], s[0:1], 0x40
	v_mov_b32_e32 v2, 0
	s_lshl_b32 s2, s6, 3
	s_wait_kmcnt 0x0
	s_add_nc_u64 s[0:1], s[10:11], s[0:1]
	s_delay_alu instid0(SALU_CYCLE_1)
	v_mov_b64_e32 v[0:1], s[0:1]
	s_add_nc_u64 s[0:1], s[12:13], s[2:3]
	global_store_b64 v2, v[0:1], s[0:1]
.LBB7_34:
	s_endpgm
	.section	.rodata,"a",@progbits
	.p2align	6, 0x0
	.amdhsa_kernel _ZN9rocsolver6v33100L23getf2_npvt_panel_kernelI19rocblas_complex_numIdEllPS3_EEvT0_S5_T2_lS5_lPT1_S5_S5_
		.amdhsa_group_segment_fixed_size 0
		.amdhsa_private_segment_fixed_size 0
		.amdhsa_kernarg_size 328
		.amdhsa_user_sgpr_count 2
		.amdhsa_user_sgpr_dispatch_ptr 0
		.amdhsa_user_sgpr_queue_ptr 0
		.amdhsa_user_sgpr_kernarg_segment_ptr 1
		.amdhsa_user_sgpr_dispatch_id 0
		.amdhsa_user_sgpr_kernarg_preload_length 0
		.amdhsa_user_sgpr_kernarg_preload_offset 0
		.amdhsa_user_sgpr_private_segment_size 0
		.amdhsa_wavefront_size32 1
		.amdhsa_uses_dynamic_stack 0
		.amdhsa_enable_private_segment 0
		.amdhsa_system_sgpr_workgroup_id_x 1
		.amdhsa_system_sgpr_workgroup_id_y 0
		.amdhsa_system_sgpr_workgroup_id_z 1
		.amdhsa_system_sgpr_workgroup_info 0
		.amdhsa_system_vgpr_workitem_id 1
		.amdhsa_next_free_vgpr 32
		.amdhsa_next_free_sgpr 36
		.amdhsa_named_barrier_count 0
		.amdhsa_reserve_vcc 1
		.amdhsa_float_round_mode_32 0
		.amdhsa_float_round_mode_16_64 0
		.amdhsa_float_denorm_mode_32 3
		.amdhsa_float_denorm_mode_16_64 3
		.amdhsa_fp16_overflow 0
		.amdhsa_memory_ordered 1
		.amdhsa_forward_progress 1
		.amdhsa_inst_pref_size 14
		.amdhsa_round_robin_scheduling 0
		.amdhsa_exception_fp_ieee_invalid_op 0
		.amdhsa_exception_fp_denorm_src 0
		.amdhsa_exception_fp_ieee_div_zero 0
		.amdhsa_exception_fp_ieee_overflow 0
		.amdhsa_exception_fp_ieee_underflow 0
		.amdhsa_exception_fp_ieee_inexact 0
		.amdhsa_exception_int_div_zero 0
	.end_amdhsa_kernel
	.section	.text._ZN9rocsolver6v33100L23getf2_npvt_panel_kernelI19rocblas_complex_numIdEllPS3_EEvT0_S5_T2_lS5_lPT1_S5_S5_,"axG",@progbits,_ZN9rocsolver6v33100L23getf2_npvt_panel_kernelI19rocblas_complex_numIdEllPS3_EEvT0_S5_T2_lS5_lPT1_S5_S5_,comdat
.Lfunc_end7:
	.size	_ZN9rocsolver6v33100L23getf2_npvt_panel_kernelI19rocblas_complex_numIdEllPS3_EEvT0_S5_T2_lS5_lPT1_S5_S5_, .Lfunc_end7-_ZN9rocsolver6v33100L23getf2_npvt_panel_kernelI19rocblas_complex_numIdEllPS3_EEvT0_S5_T2_lS5_lPT1_S5_S5_
                                        ; -- End function
	.set _ZN9rocsolver6v33100L23getf2_npvt_panel_kernelI19rocblas_complex_numIdEllPS3_EEvT0_S5_T2_lS5_lPT1_S5_S5_.num_vgpr, 32
	.set _ZN9rocsolver6v33100L23getf2_npvt_panel_kernelI19rocblas_complex_numIdEllPS3_EEvT0_S5_T2_lS5_lPT1_S5_S5_.num_agpr, 0
	.set _ZN9rocsolver6v33100L23getf2_npvt_panel_kernelI19rocblas_complex_numIdEllPS3_EEvT0_S5_T2_lS5_lPT1_S5_S5_.numbered_sgpr, 36
	.set _ZN9rocsolver6v33100L23getf2_npvt_panel_kernelI19rocblas_complex_numIdEllPS3_EEvT0_S5_T2_lS5_lPT1_S5_S5_.num_named_barrier, 0
	.set _ZN9rocsolver6v33100L23getf2_npvt_panel_kernelI19rocblas_complex_numIdEllPS3_EEvT0_S5_T2_lS5_lPT1_S5_S5_.private_seg_size, 0
	.set _ZN9rocsolver6v33100L23getf2_npvt_panel_kernelI19rocblas_complex_numIdEllPS3_EEvT0_S5_T2_lS5_lPT1_S5_S5_.uses_vcc, 1
	.set _ZN9rocsolver6v33100L23getf2_npvt_panel_kernelI19rocblas_complex_numIdEllPS3_EEvT0_S5_T2_lS5_lPT1_S5_S5_.uses_flat_scratch, 0
	.set _ZN9rocsolver6v33100L23getf2_npvt_panel_kernelI19rocblas_complex_numIdEllPS3_EEvT0_S5_T2_lS5_lPT1_S5_S5_.has_dyn_sized_stack, 0
	.set _ZN9rocsolver6v33100L23getf2_npvt_panel_kernelI19rocblas_complex_numIdEllPS3_EEvT0_S5_T2_lS5_lPT1_S5_S5_.has_recursion, 0
	.set _ZN9rocsolver6v33100L23getf2_npvt_panel_kernelI19rocblas_complex_numIdEllPS3_EEvT0_S5_T2_lS5_lPT1_S5_S5_.has_indirect_call, 0
	.section	.AMDGPU.csdata,"",@progbits
; Kernel info:
; codeLenInByte = 1700
; TotalNumSgprs: 38
; NumVgprs: 32
; ScratchSize: 0
; MemoryBound: 1
; FloatMode: 240
; IeeeMode: 1
; LDSByteSize: 0 bytes/workgroup (compile time only)
; SGPRBlocks: 0
; VGPRBlocks: 1
; NumSGPRsForWavesPerEU: 38
; NumVGPRsForWavesPerEU: 32
; NamedBarCnt: 0
; Occupancy: 16
; WaveLimiterHint : 0
; COMPUTE_PGM_RSRC2:SCRATCH_EN: 0
; COMPUTE_PGM_RSRC2:USER_SGPR: 2
; COMPUTE_PGM_RSRC2:TRAP_HANDLER: 0
; COMPUTE_PGM_RSRC2:TGID_X_EN: 1
; COMPUTE_PGM_RSRC2:TGID_Y_EN: 0
; COMPUTE_PGM_RSRC2:TGID_Z_EN: 1
; COMPUTE_PGM_RSRC2:TIDIG_COMP_CNT: 1
	.section	.text._ZN9rocsolver6v33100L18getf2_panel_kernelI19rocblas_complex_numIdEllPKPS3_EEvT0_S7_T2_lS7_lPS7_llPT1_S7_S7_S9_l,"axG",@progbits,_ZN9rocsolver6v33100L18getf2_panel_kernelI19rocblas_complex_numIdEllPKPS3_EEvT0_S7_T2_lS7_lPS7_llPT1_S7_S7_S9_l,comdat
	.globl	_ZN9rocsolver6v33100L18getf2_panel_kernelI19rocblas_complex_numIdEllPKPS3_EEvT0_S7_T2_lS7_lPS7_llPT1_S7_S7_S9_l ; -- Begin function _ZN9rocsolver6v33100L18getf2_panel_kernelI19rocblas_complex_numIdEllPKPS3_EEvT0_S7_T2_lS7_lPS7_llPT1_S7_S7_S9_l
	.p2align	8
	.type	_ZN9rocsolver6v33100L18getf2_panel_kernelI19rocblas_complex_numIdEllPKPS3_EEvT0_S7_T2_lS7_lPS7_llPT1_S7_S7_S9_l,@function
_ZN9rocsolver6v33100L18getf2_panel_kernelI19rocblas_complex_numIdEllPKPS3_EEvT0_S7_T2_lS7_lPS7_llPT1_S7_S7_S9_l: ; @_ZN9rocsolver6v33100L18getf2_panel_kernelI19rocblas_complex_numIdEllPKPS3_EEvT0_S7_T2_lS7_lPS7_llPT1_S7_S7_S9_l
; %bb.0:
	s_load_b256 s[4:11], s[0:1], 0x0
	s_bfe_u32 s2, ttmp6, 0x40014
	s_lshr_b32 s3, ttmp7, 16
	s_add_co_i32 s2, s2, 1
	s_clause 0x1
	s_load_b128 s[16:19], s[0:1], 0x58
	s_load_b64 s[22:23], s[0:1], 0x20
	s_mul_i32 s2, s3, s2
	s_bfe_u32 s12, ttmp6, 0x40008
	s_getreg_b32 s13, hwreg(HW_REG_IB_STS2, 6, 4)
	s_add_co_i32 s12, s12, s2
	s_cmp_eq_u32 s13, 0
	s_mov_b32 s21, 0
	s_cselect_b32 s20, s3, s12
	s_mov_b64 s[24:25], 0
	s_clause 0x1
	s_load_b64 s[2:3], s[0:1], 0x68
	s_load_b32 s26, s[0:1], 0x7c
	s_wait_kmcnt 0x0
	s_load_b64 s[34:35], s[8:9], s20 offset:0x0 scale_offset
	s_cmp_eq_u64 s[18:19], 0
	s_cselect_b32 s33, -1, 0
	s_delay_alu instid0(SALU_CYCLE_1)
	s_and_b32 vcc_lo, exec_lo, s33
	s_cbranch_vccnz .LBB8_2
; %bb.1:
	s_mul_u64 s[2:3], s[2:3], s[20:21]
	s_delay_alu instid0(SALU_CYCLE_1) | instskip(NEXT) | instid1(SALU_CYCLE_1)
	s_lshl_b64 s[2:3], s[2:3], 3
	s_add_nc_u64 s[24:25], s[18:19], s[2:3]
.LBB8_2:
	s_and_b32 s3, s26, 0xffff
	v_bfe_u32 v4, v0, 10, 10
	s_lshl_b32 s2, s3, 4
	v_and_b32_e32 v8, 0x3ff, v0
	s_add_co_i32 s44, s2, 16
	s_lshl_b32 s2, s6, 4
	v_mov_b32_e32 v9, 0
	s_add_co_i32 s45, s44, s2
	v_cmp_eq_u32_e64 s2, 0, v4
	s_lshl_b64 s[30:31], s[10:11], 4
	s_wait_xcnt 0x0
	s_lshl_b32 s8, s3, 3
	s_wait_kmcnt 0x0
	s_add_nc_u64 s[38:39], s[34:35], s[30:31]
	s_add_co_i32 s19, s45, s8
                                        ; implicit-def: $vgpr12_vgpr13
	s_and_saveexec_b32 s8, s2
	s_cbranch_execz .LBB8_6
; %bb.3:
	v_mov_b64_e32 v[0:1], 0
	v_mov_b64_e32 v[2:3], 0
	s_mov_b32 s9, exec_lo
	v_cmpx_gt_i64_e64 s[4:5], v[8:9]
	s_cbranch_execz .LBB8_5
; %bb.4:
	flat_load_b128 v[0:3], v8, s[38:39] scale_offset
.LBB8_5:
	s_wait_xcnt 0x0
	s_or_b32 exec_lo, exec_lo, s9
	s_wait_loadcnt_dscnt 0x0
	v_cmp_gt_f64_e32 vcc_lo, 0, v[0:1]
	v_lshl_add_u32 v6, v8, 4, 16
	v_xor_b32_e32 v7, 0x80000000, v1
	v_lshlrev_b32_e32 v5, 3, v8
	v_xor_b32_e32 v10, 0x80000000, v3
	ds_store_2addr_b64 v6, v[0:1], v[2:3] offset1:1
	v_cndmask_b32_e32 v1, v1, v7, vcc_lo
	v_cmp_gt_f64_e32 vcc_lo, 0, v[2:3]
	v_dual_add_nc_u32 v11, s19, v5 :: v_dual_cndmask_b32 v3, v3, v10, vcc_lo
	s_delay_alu instid0(VALU_DEP_1)
	v_dual_add_f64 v[12:13], v[0:1], v[2:3] :: v_dual_add_nc_u32 v0, s45, v5
	ds_store_b64 v0, v[12:13]
	ds_store_b64 v11, v[8:9]
.LBB8_6:
	s_or_b32 exec_lo, exec_lo, s8
	s_load_b256 s[8:15], s[0:1], 0x30
	s_wait_xcnt 0x0
	v_cmp_lt_i64_e64 s0, s[6:7], 1
	s_and_b32 vcc_lo, exec_lo, s0
	s_cbranch_vccnz .LBB8_54
; %bb.7:
	v_dual_mov_b32 v11, 0 :: v_dual_add_nc_u32 v10, 2, v4
	v_mul_u64_e32 v[18:19], s[22:23], v[8:9]
	v_dual_lshlrev_b32 v2, 4, v8 :: v_dual_lshlrev_b32 v6, 3, v8
	s_delay_alu instid0(VALU_DEP_3) | instskip(NEXT) | instid1(VALU_DEP_4)
	v_mov_b32_e32 v3, v11
	v_mul_u64_e32 v[0:1], s[22:23], v[10:11]
	v_dual_mov_b32 v7, v11 :: v_dual_bitop2_b32 v5, v8, v4 bitop3:0x54
	s_delay_alu instid0(VALU_DEP_4)
	v_dual_lshlrev_b32 v4, 4, v4 :: v_dual_add_nc_u32 v32, s45, v6
	v_add_nc_u32_e32 v33, s19, v6
	v_cmp_gt_u64_e32 vcc_lo, s[6:7], v[8:9]
	s_mov_b32 s18, 0
	s_wait_kmcnt 0x0
	s_mul_u64 s[36:37], s[12:13], s[20:21]
	v_cmp_gt_i64_e64 s0, s[4:5], v[8:9]
	v_cmp_le_i64_e64 s1, s[4:5], v[8:9]
	v_add_nc_u64_e32 v[14:15], s[38:39], v[2:3]
	v_add_nc_u64_e32 v[16:17], s[24:25], v[6:7]
	v_mov_b64_e32 v[22:23], 0
	s_lshr_b32 s26, s26, 16
	s_lshl_b64 s[40:41], s[10:11], 3
	s_lshr_b32 s10, s3, 1
	s_mov_b32 s27, s18
	s_lshl_b64 s[4:5], s[36:37], 3
	s_cmp_gt_u32 s3, 1
	v_cmp_eq_u32_e64 s3, 0, v5
	v_dual_add_nc_u32 v34, 16, v2 :: v_dual_add_nc_u32 v35, s44, v2
	v_add3_u32 v36, s44, v4, 32
	v_mov_b32_e32 v37, s19
	s_add_nc_u64 s[4:5], s[8:9], s[4:5]
	s_mul_u64 s[8:9], s[22:23], s[26:27]
	s_add_nc_u64 s[12:13], s[16:17], 1
	v_lshl_add_u64 v[18:19], v[18:19], 4, s[38:39]
	s_add_nc_u64 s[28:29], s[6:7], -1
	s_mov_b32 s11, s18
	s_cselect_b32 s21, -1, 0
	v_lshl_add_u64 v[0:1], v[0:1], 4, s[30:31]
	s_lshl_b64 s[30:31], s[22:23], 4
	s_lshl_b64 s[36:37], s[8:9], 4
	s_and_b32 s46, s2, vcc_lo
	s_lshl_b32 s47, s26, 4
	v_add_nc_u64_e32 v[0:1], v[0:1], v[2:3]
	s_mov_b64 s[8:9], 0
	s_mov_b64 s[38:39], 0
	s_delay_alu instid0(VALU_DEP_1) | instskip(SKIP_1) | instid1(VALU_DEP_1)
	v_add_nc_u64_e32 v[0:1], s[34:35], v[0:1]
	s_add_nc_u64 s[34:35], s[4:5], s[40:41]
	v_add_nc_u64_e32 v[20:21], 8, v[0:1]
.LBB8_8:                                ; =>This Loop Header: Depth=1
                                        ;     Child Loop BB8_14 Depth 2
                                        ;     Child Loop BB8_49 Depth 2
	v_mov_b64_e32 v[0:1], v[8:9]
	s_and_not1_b32 vcc_lo, exec_lo, s21
	s_mov_b64 s[40:41], s[10:11]
	s_wait_dscnt 0x0
	s_barrier_signal -1
	s_barrier_wait -1
	s_cbranch_vccz .LBB8_14
.LBB8_9:                                ;   in Loop: Header=BB8_8 Depth=1
	ds_load_b64 v[0:1], v37
	s_wait_dscnt 0x0
	v_lshlrev_b32_e32 v2, 4, v0
	v_readfirstlane_b32 s42, v0
	v_readfirstlane_b32 s43, v1
	s_delay_alu instid0(VALU_DEP_3)
	v_add_nc_u32_e32 v2, 16, v2
	ds_load_2addr_b64 v[4:7], v2 offset1:1
	s_wait_dscnt 0x0
	v_cmp_eq_f64_e32 vcc_lo, 0, v[4:5]
	v_cmp_eq_f64_e64 s4, 0, v[6:7]
	s_and_b32 s4, vcc_lo, s4
	s_delay_alu instid0(SALU_CYCLE_1)
	s_and_not1_b32 vcc_lo, exec_lo, s4
	s_cbranch_vccz .LBB8_19
; %bb.10:                               ;   in Loop: Header=BB8_8 Depth=1
	v_cmp_ngt_f64_e64 s4, |v[4:5]|, |v[6:7]|
	s_and_b32 vcc_lo, exec_lo, s4
	s_cbranch_vccz .LBB8_20
; %bb.11:                               ;   in Loop: Header=BB8_8 Depth=1
	v_div_scale_f64 v[0:1], null, v[6:7], v[6:7], v[4:5]
	v_div_scale_f64 v[26:27], vcc_lo, v[4:5], v[6:7], v[4:5]
	s_delay_alu instid0(VALU_DEP_2) | instskip(SKIP_1) | instid1(TRANS32_DEP_1)
	v_rcp_f64_e32 v[2:3], v[0:1]
	v_nop
	v_fma_f64 v[24:25], -v[0:1], v[2:3], 1.0
	s_delay_alu instid0(VALU_DEP_1) | instskip(NEXT) | instid1(VALU_DEP_1)
	v_fmac_f64_e32 v[2:3], v[2:3], v[24:25]
	v_fma_f64 v[24:25], -v[0:1], v[2:3], 1.0
	s_delay_alu instid0(VALU_DEP_1) | instskip(NEXT) | instid1(VALU_DEP_1)
	v_fmac_f64_e32 v[2:3], v[2:3], v[24:25]
	v_mul_f64_e32 v[24:25], v[26:27], v[2:3]
	s_delay_alu instid0(VALU_DEP_1) | instskip(NEXT) | instid1(VALU_DEP_1)
	v_fma_f64 v[0:1], -v[0:1], v[24:25], v[26:27]
	v_div_fmas_f64 v[0:1], v[0:1], v[2:3], v[24:25]
	s_delay_alu instid0(VALU_DEP_1) | instskip(NEXT) | instid1(VALU_DEP_1)
	v_div_fixup_f64 v[0:1], v[0:1], v[6:7], v[4:5]
	v_fma_f64 v[2:3], v[4:5], v[0:1], v[6:7]
	s_delay_alu instid0(VALU_DEP_1) | instskip(NEXT) | instid1(VALU_DEP_1)
	v_div_scale_f64 v[24:25], null, v[2:3], v[2:3], 1.0
	v_rcp_f64_e32 v[26:27], v[24:25]
	v_nop
	s_delay_alu instid0(TRANS32_DEP_1) | instskip(NEXT) | instid1(VALU_DEP_1)
	v_fma_f64 v[28:29], -v[24:25], v[26:27], 1.0
	v_fmac_f64_e32 v[26:27], v[26:27], v[28:29]
	s_delay_alu instid0(VALU_DEP_1) | instskip(NEXT) | instid1(VALU_DEP_1)
	v_fma_f64 v[28:29], -v[24:25], v[26:27], 1.0
	v_fmac_f64_e32 v[26:27], v[26:27], v[28:29]
	v_div_scale_f64 v[28:29], vcc_lo, 1.0, v[2:3], 1.0
	s_delay_alu instid0(VALU_DEP_1) | instskip(NEXT) | instid1(VALU_DEP_1)
	v_mul_f64_e32 v[30:31], v[28:29], v[26:27]
	v_fma_f64 v[24:25], -v[24:25], v[30:31], v[28:29]
	s_delay_alu instid0(VALU_DEP_1) | instskip(NEXT) | instid1(VALU_DEP_1)
	v_div_fmas_f64 v[24:25], v[24:25], v[26:27], v[30:31]
	v_div_fixup_f64 v[2:3], v[24:25], v[2:3], 1.0
	s_delay_alu instid0(VALU_DEP_1)
	v_mul_f64_e32 v[0:1], v[0:1], v[2:3]
	v_xor_b32_e32 v3, 0x80000000, v3
	s_cbranch_execz .LBB8_21
	s_branch .LBB8_22
.LBB8_12:                               ;   in Loop: Header=BB8_14 Depth=2
	s_or_b32 exec_lo, exec_lo, s4
.LBB8_13:                               ;   in Loop: Header=BB8_14 Depth=2
	s_delay_alu instid0(SALU_CYCLE_1)
	s_or_b32 exec_lo, exec_lo, s5
	v_cmp_lt_u64_e64 s4, s[40:41], 2
	s_lshr_b64 s[40:41], s[40:41], 1
	s_wait_dscnt 0x0
	s_barrier_signal -1
	s_barrier_wait -1
	s_and_b32 vcc_lo, exec_lo, s4
	s_cbranch_vccnz .LBB8_9
.LBB8_14:                               ;   Parent Loop BB8_8 Depth=1
                                        ; =>  This Inner Loop Header: Depth=2
	v_cmp_gt_u64_e32 vcc_lo, s[40:41], v[8:9]
	s_and_b32 s4, s2, vcc_lo
	s_delay_alu instid0(SALU_CYCLE_1)
	s_and_saveexec_b32 s5, s4
	s_cbranch_execz .LBB8_13
; %bb.15:                               ;   in Loop: Header=BB8_14 Depth=2
	s_lshl_b32 s4, s40, 3
	s_mov_b32 s42, exec_lo
	v_dual_add_nc_u32 v2, s4, v32 :: v_dual_add_nc_u32 v4, s4, v33
	ds_load_b64 v[2:3], v2
	ds_load_b64 v[4:5], v4
	s_wait_dscnt 0x1
	v_cmp_lt_f64_e64 s19, v[12:13], v[2:3]
	v_cmpx_nlt_f64_e32 v[12:13], v[2:3]
	s_cbranch_execz .LBB8_17
; %bb.16:                               ;   in Loop: Header=BB8_14 Depth=2
	v_cmp_eq_f64_e32 vcc_lo, v[12:13], v[2:3]
	s_wait_dscnt 0x0
	v_cmp_gt_i64_e64 s4, v[0:1], v[4:5]
	s_and_not1_b32 s19, s19, exec_lo
	s_and_b32 s4, vcc_lo, s4
	s_delay_alu instid0(SALU_CYCLE_1) | instskip(NEXT) | instid1(SALU_CYCLE_1)
	s_and_b32 s4, s4, exec_lo
	s_or_b32 s19, s19, s4
.LBB8_17:                               ;   in Loop: Header=BB8_14 Depth=2
	s_or_b32 exec_lo, exec_lo, s42
	s_and_saveexec_b32 s4, s19
	s_cbranch_execz .LBB8_12
; %bb.18:                               ;   in Loop: Header=BB8_14 Depth=2
	v_mov_b64_e32 v[12:13], v[2:3]
	s_wait_dscnt 0x0
	v_mov_b64_e32 v[0:1], v[4:5]
	ds_store_b64 v32, v[2:3]
	ds_store_b64 v33, v[4:5]
	s_branch .LBB8_12
.LBB8_19:                               ;   in Loop: Header=BB8_8 Depth=1
                                        ; implicit-def: $vgpr2_vgpr3
	s_add_nc_u64 s[40:41], s[38:39], 1
	s_branch .LBB8_23
.LBB8_20:                               ;   in Loop: Header=BB8_8 Depth=1
                                        ; implicit-def: $vgpr2_vgpr3
.LBB8_21:                               ;   in Loop: Header=BB8_8 Depth=1
	v_div_scale_f64 v[0:1], null, v[4:5], v[4:5], v[6:7]
	v_div_scale_f64 v[26:27], vcc_lo, v[6:7], v[4:5], v[6:7]
	s_delay_alu instid0(VALU_DEP_2) | instskip(SKIP_1) | instid1(TRANS32_DEP_1)
	v_rcp_f64_e32 v[2:3], v[0:1]
	v_nop
	v_fma_f64 v[24:25], -v[0:1], v[2:3], 1.0
	s_delay_alu instid0(VALU_DEP_1) | instskip(NEXT) | instid1(VALU_DEP_1)
	v_fmac_f64_e32 v[2:3], v[2:3], v[24:25]
	v_fma_f64 v[24:25], -v[0:1], v[2:3], 1.0
	s_delay_alu instid0(VALU_DEP_1) | instskip(NEXT) | instid1(VALU_DEP_1)
	v_fmac_f64_e32 v[2:3], v[2:3], v[24:25]
	v_mul_f64_e32 v[24:25], v[26:27], v[2:3]
	s_delay_alu instid0(VALU_DEP_1) | instskip(NEXT) | instid1(VALU_DEP_1)
	v_fma_f64 v[0:1], -v[0:1], v[24:25], v[26:27]
	v_div_fmas_f64 v[0:1], v[0:1], v[2:3], v[24:25]
	s_delay_alu instid0(VALU_DEP_1) | instskip(NEXT) | instid1(VALU_DEP_1)
	v_div_fixup_f64 v[2:3], v[0:1], v[4:5], v[6:7]
	v_fma_f64 v[0:1], v[6:7], v[2:3], v[4:5]
	s_delay_alu instid0(VALU_DEP_1) | instskip(NEXT) | instid1(VALU_DEP_1)
	v_div_scale_f64 v[24:25], null, v[0:1], v[0:1], 1.0
	v_rcp_f64_e32 v[26:27], v[24:25]
	v_nop
	s_delay_alu instid0(TRANS32_DEP_1) | instskip(NEXT) | instid1(VALU_DEP_1)
	v_fma_f64 v[28:29], -v[24:25], v[26:27], 1.0
	v_fmac_f64_e32 v[26:27], v[26:27], v[28:29]
	s_delay_alu instid0(VALU_DEP_1) | instskip(NEXT) | instid1(VALU_DEP_1)
	v_fma_f64 v[28:29], -v[24:25], v[26:27], 1.0
	v_fmac_f64_e32 v[26:27], v[26:27], v[28:29]
	v_div_scale_f64 v[28:29], vcc_lo, 1.0, v[0:1], 1.0
	s_delay_alu instid0(VALU_DEP_1) | instskip(NEXT) | instid1(VALU_DEP_1)
	v_mul_f64_e32 v[30:31], v[28:29], v[26:27]
	v_fma_f64 v[24:25], -v[24:25], v[30:31], v[28:29]
	s_delay_alu instid0(VALU_DEP_1) | instskip(NEXT) | instid1(VALU_DEP_1)
	v_div_fmas_f64 v[24:25], v[24:25], v[26:27], v[30:31]
	v_div_fixup_f64 v[0:1], v[24:25], v[0:1], 1.0
	s_delay_alu instid0(VALU_DEP_1)
	v_mul_f64_e64 v[2:3], v[2:3], -v[0:1]
.LBB8_22:                               ;   in Loop: Header=BB8_8 Depth=1
	s_add_nc_u64 s[40:41], s[38:39], 1
	s_cbranch_execnz .LBB8_24
.LBB8_23:                               ;   in Loop: Header=BB8_8 Depth=1
	v_mov_b64_e32 v[0:1], v[4:5]
	v_mov_b64_e32 v[2:3], v[6:7]
	s_add_nc_u64 s[4:5], s[38:39], 1
	s_cmp_eq_u64 s[8:9], 0
	s_mov_b64 s[42:43], s[38:39]
	s_cselect_b32 s9, s5, s9
	s_cselect_b32 s8, s4, s8
.LBB8_24:                               ;   in Loop: Header=BB8_8 Depth=1
	s_and_saveexec_b32 s4, s3
	s_cbranch_execz .LBB8_26
; %bb.25:                               ;   in Loop: Header=BB8_8 Depth=1
	s_add_nc_u64 s[48:49], s[12:13], s[42:43]
	s_delay_alu instid0(SALU_CYCLE_1) | instskip(SKIP_1) | instid1(SALU_CYCLE_1)
	v_mov_b64_e32 v[4:5], s[48:49]
	s_lshl_b64 s[48:49], s[38:39], 3
	s_add_nc_u64 s[48:49], s[34:35], s[48:49]
	global_store_b64 v11, v[4:5], s[48:49]
.LBB8_26:                               ;   in Loop: Header=BB8_8 Depth=1
	s_wait_xcnt 0x0
	s_or_b32 exec_lo, exec_lo, s4
	s_delay_alu instid0(SALU_CYCLE_1)
	s_mov_b32 s5, exec_lo
	v_cmp_eq_u64_e32 vcc_lo, s[42:43], v[8:9]
	v_cmpx_ne_u64_e64 s[42:43], v[8:9]
	s_cbranch_execz .LBB8_30
; %bb.27:                               ;   in Loop: Header=BB8_8 Depth=1
	ds_load_2addr_b64 v[24:27], v34 offset1:1
	v_cmp_le_u64_e64 s4, s[38:39], v[8:9]
	s_and_b32 s4, s0, s4
	s_delay_alu instid0(SALU_CYCLE_1) | instskip(SKIP_3) | instid1(VALU_DEP_2)
	s_and_b32 s19, s2, s4
	s_wait_dscnt 0x0
	v_mul_f64_e32 v[4:5], v[2:3], v[26:27]
	v_mul_f64_e32 v[6:7], v[0:1], v[26:27]
	v_fma_f64 v[4:5], v[0:1], v[24:25], -v[4:5]
	s_delay_alu instid0(VALU_DEP_2)
	v_fmac_f64_e32 v[6:7], v[2:3], v[24:25]
	s_and_saveexec_b32 s4, s19
	s_cbranch_execz .LBB8_29
; %bb.28:                               ;   in Loop: Header=BB8_8 Depth=1
	s_mul_u64 s[48:49], s[38:39], s[22:23]
	s_delay_alu instid0(SALU_CYCLE_1)
	v_lshl_add_u64 v[0:1], s[48:49], 4, v[14:15]
	flat_store_b128 v[0:1], v[4:7]
.LBB8_29:                               ;   in Loop: Header=BB8_8 Depth=1
	s_wait_xcnt 0x0
	s_or_b32 exec_lo, exec_lo, s4
	s_delay_alu instid0(VALU_DEP_2) | instskip(NEXT) | instid1(VALU_DEP_2)
	v_mov_b64_e32 v[0:1], v[4:5]
	v_mov_b64_e32 v[2:3], v[6:7]
.LBB8_30:                               ;   in Loop: Header=BB8_8 Depth=1
	s_or_b32 exec_lo, exec_lo, s5
	v_lshl_add_u64 v[24:25], s[42:43], 4, v[18:19]
	s_and_saveexec_b32 s5, s46
	s_cbranch_execz .LBB8_33
; %bb.31:                               ;   in Loop: Header=BB8_8 Depth=1
	flat_load_b128 v[4:7], v[24:25]
	v_cmp_eq_u64_e64 s4, s[38:39], v[8:9]
	s_wait_loadcnt_dscnt 0x0
	ds_store_2addr_b64 v35, v[4:5], v[6:7] offset1:1
	s_wait_xcnt 0x0
	s_and_b32 exec_lo, exec_lo, s4
; %bb.32:                               ;   in Loop: Header=BB8_8 Depth=1
	ds_store_b128 v11, v[0:3]
.LBB8_33:                               ;   in Loop: Header=BB8_8 Depth=1
	s_or_b32 exec_lo, exec_lo, s5
	s_cmp_lg_u64 s[42:43], s[38:39]
	s_wait_storecnt_dscnt 0x0
	s_cselect_b32 s4, -1, 0
	s_barrier_signal -1
	s_and_b32 s4, s46, s4
	s_barrier_wait -1
	s_and_saveexec_b32 s19, s4
	s_cbranch_execz .LBB8_41
; %bb.34:                               ;   in Loop: Header=BB8_8 Depth=1
	s_mov_b64 s[4:5], src_shared_base
	v_cmp_ne_u64_e64 s4, s[38:39], v[8:9]
	v_lshl_add_u64 v[26:27], s[38:39], 4, v[18:19]
	v_mov_b64_e32 v[28:29], 0
	v_mov_b64_e32 v[30:31], 0
	s_mov_b32 s48, exec_lo
	s_delay_alu instid0(VALU_DEP_3)
	v_cndmask_b32_e64 v5, s5, v27, s4
	v_cndmask_b32_e64 v4, 0, v26, s4
	flat_load_b128 v[4:7], v[4:5]
	s_wait_xcnt 0x0
	v_cmpx_lt_u64_e64 s[38:39], v[8:9]
	s_cbranch_execz .LBB8_36
; %bb.35:                               ;   in Loop: Header=BB8_8 Depth=1
	ds_load_2addr_b64 v[38:41], v35 offset1:1
	ds_load_b128 v[42:45], v11
	s_wait_dscnt 0x0
	v_mul_f64_e32 v[30:31], v[40:41], v[44:45]
	v_mul_f64_e32 v[28:29], v[38:39], v[44:45]
	s_delay_alu instid0(VALU_DEP_2) | instskip(NEXT) | instid1(VALU_DEP_2)
	v_fma_f64 v[30:31], v[38:39], v[42:43], -v[30:31]
	v_fmac_f64_e32 v[28:29], v[40:41], v[42:43]
.LBB8_36:                               ;   in Loop: Header=BB8_8 Depth=1
	s_or_b32 exec_lo, exec_lo, s48
	s_wait_loadcnt_dscnt 0x0
	s_delay_alu instid0(VALU_DEP_2) | instskip(NEXT) | instid1(VALU_DEP_2)
	v_add_f64_e64 v[4:5], v[4:5], -v[30:31]
	v_add_f64_e64 v[6:7], v[6:7], -v[28:29]
	s_add_nc_u64 s[48:49], s[38:39], 1
	s_delay_alu instid0(SALU_CYCLE_1)
	v_cmp_eq_u64_e64 s5, s[48:49], v[8:9]
	flat_store_b128 v[24:25], v[4:7]
	ds_load_2addr_b64 v[28:31], v35 offset1:1
	s_wait_dscnt 0x0
	flat_store_b128 v[26:27], v[28:31]
	s_wait_xcnt 0x0
	s_and_saveexec_b32 s48, s5
	s_cbranch_execz .LBB8_38
; %bb.37:                               ;   in Loop: Header=BB8_8 Depth=1
	s_lshl_b32 s5, s42, 4
	v_xor_b32_e32 v13, 0x80000000, v5
	s_add_co_i32 s5, s5, 16
	v_xor_b32_e32 v24, 0x80000000, v7
	v_mov_b32_e32 v12, s5
	v_cmp_gt_f64_e64 s5, 0, v[4:5]
	ds_store_2addr_b64 v12, v[4:5], v[6:7] offset1:1
	v_cndmask_b32_e64 v5, v5, v13, s5
	v_cmp_gt_f64_e64 s5, 0, v[6:7]
	s_delay_alu instid0(VALU_DEP_1) | instskip(SKIP_1) | instid1(SALU_CYCLE_1)
	v_cndmask_b32_e64 v7, v7, v24, s5
	s_lshl_b32 s5, s42, 3
	s_add_co_i32 s5, s45, s5
	s_delay_alu instid0(VALU_DEP_1) | instid1(SALU_CYCLE_1)
	v_dual_add_f64 v[12:13], v[6:7], v[4:5] :: v_dual_mov_b32 v4, s5
	ds_store_b64 v4, v[12:13]
.LBB8_38:                               ;   in Loop: Header=BB8_8 Depth=1
	s_or_b32 exec_lo, exec_lo, s48
	s_nor_b32 s5, s33, s4
	s_delay_alu instid0(SALU_CYCLE_1)
	s_and_saveexec_b32 s4, s5
	s_cbranch_execz .LBB8_40
; %bb.39:                               ;   in Loop: Header=BB8_8 Depth=1
	s_lshl_b64 s[42:43], s[42:43], 3
	s_delay_alu instid0(SALU_CYCLE_1)
	s_add_nc_u64 s[42:43], s[24:25], s[42:43]
	s_clause 0x1
	global_load_b64 v[4:5], v11, s[42:43]
	global_load_b64 v[6:7], v[16:17], off
	s_wait_loadcnt 0x1
	global_store_b64 v[16:17], v[4:5], off
	s_wait_loadcnt 0x0
	global_store_b64 v11, v[6:7], s[42:43]
.LBB8_40:                               ;   in Loop: Header=BB8_8 Depth=1
	s_wait_xcnt 0x0
	s_or_b32 exec_lo, exec_lo, s4
.LBB8_41:                               ;   in Loop: Header=BB8_8 Depth=1
	s_delay_alu instid0(SALU_CYCLE_1) | instskip(SKIP_2) | instid1(SALU_CYCLE_1)
	s_or_b32 exec_lo, exec_lo, s19
	v_cmp_ge_u64_e64 s4, s[38:39], v[8:9]
	s_or_b32 s5, s1, s4
	s_nor_b32 s19, s5, vcc_lo
	s_delay_alu instid0(SALU_CYCLE_1)
	s_and_saveexec_b32 s5, s19
	s_cbranch_execnz .LBB8_47
; %bb.42:                               ;   in Loop: Header=BB8_8 Depth=1
	s_or_b32 exec_lo, exec_lo, s5
	s_and_b32 s5, s2, s4
	s_delay_alu instid0(SALU_CYCLE_1)
	s_and_saveexec_b32 s4, s5
	s_cbranch_execnz .LBB8_53
.LBB8_43:                               ;   in Loop: Header=BB8_8 Depth=1
	s_or_b32 exec_lo, exec_lo, s4
	s_and_saveexec_b32 s4, s2
.LBB8_44:                               ;   in Loop: Header=BB8_8 Depth=1
	ds_store_b64 v33, v[8:9]
.LBB8_45:                               ;   in Loop: Header=BB8_8 Depth=1
	s_or_b32 exec_lo, exec_lo, s4
	v_add_nc_u64_e32 v[20:21], s[30:31], v[20:21]
	v_add_nc_u32_e32 v36, 16, v36
	s_cmp_eq_u64 s[40:41], s[6:7]
	s_cbranch_scc1 .LBB8_55
; %bb.46:                               ;   in Loop: Header=BB8_8 Depth=1
	s_mov_b64 s[38:39], s[40:41]
	s_branch .LBB8_8
.LBB8_47:                               ;   in Loop: Header=BB8_8 Depth=1
	v_add_nc_u64_e32 v[4:5], s[38:39], v[10:11]
	s_mov_b32 s19, exec_lo
	s_delay_alu instid0(VALU_DEP_1)
	v_cmpx_gt_i64_e64 s[6:7], v[4:5]
	s_cbranch_execz .LBB8_50
; %bb.48:                               ;   in Loop: Header=BB8_8 Depth=1
	v_mov_b64_e32 v[6:7], v[20:21]
	v_mov_b32_e32 v24, v36
	s_mov_b32 s42, 0
.LBB8_49:                               ;   Parent Loop BB8_8 Depth=1
                                        ; =>  This Inner Loop Header: Depth=2
	flat_load_b128 v[26:29], v[6:7] offset:-8
	ds_load_2addr_b64 v[38:41], v24 offset1:1
	v_add_nc_u64_e32 v[4:5], s[26:27], v[4:5]
	v_add_nc_u32_e32 v24, s47, v24
	s_delay_alu instid0(VALU_DEP_2) | instskip(SKIP_4) | instid1(VALU_DEP_2)
	v_cmp_le_i64_e32 vcc_lo, s[6:7], v[4:5]
	s_or_b32 s42, vcc_lo, s42
	s_wait_dscnt 0x0
	v_mul_f64_e32 v[30:31], v[2:3], v[40:41]
	v_mul_f64_e32 v[40:41], v[0:1], v[40:41]
	v_fma_f64 v[30:31], v[0:1], v[38:39], -v[30:31]
	s_delay_alu instid0(VALU_DEP_2) | instskip(SKIP_1) | instid1(VALU_DEP_2)
	v_fmac_f64_e32 v[40:41], v[2:3], v[38:39]
	s_wait_loadcnt 0x0
	v_add_f64_e64 v[26:27], v[26:27], -v[30:31]
	s_delay_alu instid0(VALU_DEP_2)
	v_add_f64_e64 v[28:29], v[28:29], -v[40:41]
	flat_store_b128 v[6:7], v[26:29] offset:-8
	s_wait_xcnt 0x0
	v_add_nc_u64_e32 v[6:7], s[36:37], v[6:7]
	s_and_not1_b32 exec_lo, exec_lo, s42
	s_cbranch_execnz .LBB8_49
.LBB8_50:                               ;   in Loop: Header=BB8_8 Depth=1
	s_or_b32 exec_lo, exec_lo, s19
	v_cmp_lt_i64_e64 s19, s[38:39], s[28:29]
	s_and_b32 s42, s2, s19
	s_delay_alu instid0(SALU_CYCLE_1)
	s_and_saveexec_b32 s19, s42
	s_cbranch_execz .LBB8_52
; %bb.51:                               ;   in Loop: Header=BB8_8 Depth=1
	s_add_nc_u64 s[42:43], s[38:39], 1
	s_lshl_b32 s38, s38, 4
	s_mul_u64 s[42:43], s[42:43], s[22:23]
	s_add_co_i32 s38, s44, s38
	v_lshl_add_u64 v[12:13], s[42:43], 4, v[14:15]
	v_mov_b32_e32 v24, s38
	flat_load_b128 v[4:7], v[12:13]
	ds_load_2addr_b64 v[24:27], v24 offset0:2 offset1:3
	s_wait_dscnt 0x0
	v_mul_f64_e32 v[28:29], v[2:3], v[26:27]
	v_mul_f64_e32 v[26:27], v[0:1], v[26:27]
	s_delay_alu instid0(VALU_DEP_2) | instskip(NEXT) | instid1(VALU_DEP_2)
	v_fma_f64 v[0:1], v[0:1], v[24:25], -v[28:29]
	v_fmac_f64_e32 v[26:27], v[2:3], v[24:25]
	s_wait_loadcnt 0x0
	s_delay_alu instid0(VALU_DEP_2) | instskip(NEXT) | instid1(VALU_DEP_1)
	v_add_f64_e64 v[0:1], v[4:5], -v[0:1]
	v_xor_b32_e32 v4, 0x80000000, v1
	s_delay_alu instid0(VALU_DEP_2) | instskip(NEXT) | instid1(VALU_DEP_4)
	v_cmp_gt_f64_e32 vcc_lo, 0, v[0:1]
	v_add_f64_e64 v[2:3], v[6:7], -v[26:27]
	flat_store_b128 v[12:13], v[0:3]
	ds_store_2addr_b64 v34, v[0:1], v[2:3] offset1:1
	s_wait_xcnt 0x0
	v_cndmask_b32_e32 v1, v1, v4, vcc_lo
	v_cmp_gt_f64_e32 vcc_lo, 0, v[2:3]
	v_xor_b32_e32 v5, 0x80000000, v3
	s_delay_alu instid0(VALU_DEP_1) | instskip(NEXT) | instid1(VALU_DEP_1)
	v_cndmask_b32_e32 v3, v3, v5, vcc_lo
	v_add_f64_e32 v[12:13], v[0:1], v[2:3]
	ds_store_b64 v32, v[12:13]
.LBB8_52:                               ;   in Loop: Header=BB8_8 Depth=1
	s_or_b32 exec_lo, exec_lo, s19
	s_delay_alu instid0(SALU_CYCLE_1) | instskip(SKIP_1) | instid1(SALU_CYCLE_1)
	s_or_b32 exec_lo, exec_lo, s5
	s_and_b32 s5, s2, s4
	s_and_saveexec_b32 s4, s5
	s_cbranch_execz .LBB8_43
.LBB8_53:                               ;   in Loop: Header=BB8_8 Depth=1
	s_mov_b32 s19, s18
	s_mov_b32 s38, s18
	s_mov_b32 s39, s18
	v_mov_b64_e32 v[0:1], s[18:19]
	v_mov_b64_e32 v[12:13], 0
	;; [unrolled: 1-line block ×3, first 2 shown]
	ds_store_2addr_b64 v34, v[0:1], v[2:3] offset1:1
	ds_store_b64 v32, v[22:23]
	s_or_b32 exec_lo, exec_lo, s4
	s_and_saveexec_b32 s4, s2
	s_cbranch_execnz .LBB8_44
	s_branch .LBB8_45
.LBB8_54:
	s_wait_kmcnt 0x0
	s_mov_b64 s[8:9], 0
.LBB8_55:
	s_mov_b32 s1, 0
	s_mov_b32 s0, exec_lo
	v_cmpx_eq_u32_e32 0, v8
	s_cbranch_execz .LBB8_58
; %bb.56:
	v_mov_b32_e32 v0, s20
	v_cmp_gt_i64_e64 s0, s[8:9], 0
	global_load_b64 v[0:1], v0, s[14:15] scale_offset
	s_wait_loadcnt 0x0
	v_readfirstlane_b32 s4, v0
	v_readfirstlane_b32 s5, v1
	s_cmp_eq_u64 s[4:5], 0
	s_cselect_b32 s3, -1, 0
	s_delay_alu instid0(SALU_CYCLE_1) | instskip(NEXT) | instid1(SALU_CYCLE_1)
	s_and_b32 s0, s3, s0
	s_and_b32 s0, s2, s0
	s_wait_xcnt 0x0
	s_and_b32 exec_lo, exec_lo, s0
	s_cbranch_execz .LBB8_58
; %bb.57:
	s_add_nc_u64 s[2:3], s[8:9], s[16:17]
	v_mov_b32_e32 v2, 0
	v_mov_b64_e32 v[0:1], s[2:3]
	s_lshl_b32 s0, s20, 3
	s_delay_alu instid0(SALU_CYCLE_1)
	s_add_nc_u64 s[0:1], s[14:15], s[0:1]
	global_store_b64 v2, v[0:1], s[0:1]
.LBB8_58:
	s_endpgm
	.section	.rodata,"a",@progbits
	.p2align	6, 0x0
	.amdhsa_kernel _ZN9rocsolver6v33100L18getf2_panel_kernelI19rocblas_complex_numIdEllPKPS3_EEvT0_S7_T2_lS7_lPS7_llPT1_S7_S7_S9_l
		.amdhsa_group_segment_fixed_size 16
		.amdhsa_private_segment_fixed_size 0
		.amdhsa_kernarg_size 368
		.amdhsa_user_sgpr_count 2
		.amdhsa_user_sgpr_dispatch_ptr 0
		.amdhsa_user_sgpr_queue_ptr 0
		.amdhsa_user_sgpr_kernarg_segment_ptr 1
		.amdhsa_user_sgpr_dispatch_id 0
		.amdhsa_user_sgpr_kernarg_preload_length 0
		.amdhsa_user_sgpr_kernarg_preload_offset 0
		.amdhsa_user_sgpr_private_segment_size 0
		.amdhsa_wavefront_size32 1
		.amdhsa_uses_dynamic_stack 0
		.amdhsa_enable_private_segment 0
		.amdhsa_system_sgpr_workgroup_id_x 1
		.amdhsa_system_sgpr_workgroup_id_y 0
		.amdhsa_system_sgpr_workgroup_id_z 1
		.amdhsa_system_sgpr_workgroup_info 0
		.amdhsa_system_vgpr_workitem_id 1
		.amdhsa_next_free_vgpr 46
		.amdhsa_next_free_sgpr 50
		.amdhsa_named_barrier_count 0
		.amdhsa_reserve_vcc 1
		.amdhsa_float_round_mode_32 0
		.amdhsa_float_round_mode_16_64 0
		.amdhsa_float_denorm_mode_32 3
		.amdhsa_float_denorm_mode_16_64 3
		.amdhsa_fp16_overflow 0
		.amdhsa_memory_ordered 1
		.amdhsa_forward_progress 1
		.amdhsa_inst_pref_size 23
		.amdhsa_round_robin_scheduling 0
		.amdhsa_exception_fp_ieee_invalid_op 0
		.amdhsa_exception_fp_denorm_src 0
		.amdhsa_exception_fp_ieee_div_zero 0
		.amdhsa_exception_fp_ieee_overflow 0
		.amdhsa_exception_fp_ieee_underflow 0
		.amdhsa_exception_fp_ieee_inexact 0
		.amdhsa_exception_int_div_zero 0
	.end_amdhsa_kernel
	.section	.text._ZN9rocsolver6v33100L18getf2_panel_kernelI19rocblas_complex_numIdEllPKPS3_EEvT0_S7_T2_lS7_lPS7_llPT1_S7_S7_S9_l,"axG",@progbits,_ZN9rocsolver6v33100L18getf2_panel_kernelI19rocblas_complex_numIdEllPKPS3_EEvT0_S7_T2_lS7_lPS7_llPT1_S7_S7_S9_l,comdat
.Lfunc_end8:
	.size	_ZN9rocsolver6v33100L18getf2_panel_kernelI19rocblas_complex_numIdEllPKPS3_EEvT0_S7_T2_lS7_lPS7_llPT1_S7_S7_S9_l, .Lfunc_end8-_ZN9rocsolver6v33100L18getf2_panel_kernelI19rocblas_complex_numIdEllPKPS3_EEvT0_S7_T2_lS7_lPS7_llPT1_S7_S7_S9_l
                                        ; -- End function
	.set _ZN9rocsolver6v33100L18getf2_panel_kernelI19rocblas_complex_numIdEllPKPS3_EEvT0_S7_T2_lS7_lPS7_llPT1_S7_S7_S9_l.num_vgpr, 46
	.set _ZN9rocsolver6v33100L18getf2_panel_kernelI19rocblas_complex_numIdEllPKPS3_EEvT0_S7_T2_lS7_lPS7_llPT1_S7_S7_S9_l.num_agpr, 0
	.set _ZN9rocsolver6v33100L18getf2_panel_kernelI19rocblas_complex_numIdEllPKPS3_EEvT0_S7_T2_lS7_lPS7_llPT1_S7_S7_S9_l.numbered_sgpr, 50
	.set _ZN9rocsolver6v33100L18getf2_panel_kernelI19rocblas_complex_numIdEllPKPS3_EEvT0_S7_T2_lS7_lPS7_llPT1_S7_S7_S9_l.num_named_barrier, 0
	.set _ZN9rocsolver6v33100L18getf2_panel_kernelI19rocblas_complex_numIdEllPKPS3_EEvT0_S7_T2_lS7_lPS7_llPT1_S7_S7_S9_l.private_seg_size, 0
	.set _ZN9rocsolver6v33100L18getf2_panel_kernelI19rocblas_complex_numIdEllPKPS3_EEvT0_S7_T2_lS7_lPS7_llPT1_S7_S7_S9_l.uses_vcc, 1
	.set _ZN9rocsolver6v33100L18getf2_panel_kernelI19rocblas_complex_numIdEllPKPS3_EEvT0_S7_T2_lS7_lPS7_llPT1_S7_S7_S9_l.uses_flat_scratch, 0
	.set _ZN9rocsolver6v33100L18getf2_panel_kernelI19rocblas_complex_numIdEllPKPS3_EEvT0_S7_T2_lS7_lPS7_llPT1_S7_S7_S9_l.has_dyn_sized_stack, 0
	.set _ZN9rocsolver6v33100L18getf2_panel_kernelI19rocblas_complex_numIdEllPKPS3_EEvT0_S7_T2_lS7_lPS7_llPT1_S7_S7_S9_l.has_recursion, 0
	.set _ZN9rocsolver6v33100L18getf2_panel_kernelI19rocblas_complex_numIdEllPKPS3_EEvT0_S7_T2_lS7_lPS7_llPT1_S7_S7_S9_l.has_indirect_call, 0
	.section	.AMDGPU.csdata,"",@progbits
; Kernel info:
; codeLenInByte = 2832
; TotalNumSgprs: 52
; NumVgprs: 46
; ScratchSize: 0
; MemoryBound: 1
; FloatMode: 240
; IeeeMode: 1
; LDSByteSize: 16 bytes/workgroup (compile time only)
; SGPRBlocks: 0
; VGPRBlocks: 2
; NumSGPRsForWavesPerEU: 52
; NumVGPRsForWavesPerEU: 46
; NamedBarCnt: 0
; Occupancy: 16
; WaveLimiterHint : 1
; COMPUTE_PGM_RSRC2:SCRATCH_EN: 0
; COMPUTE_PGM_RSRC2:USER_SGPR: 2
; COMPUTE_PGM_RSRC2:TRAP_HANDLER: 0
; COMPUTE_PGM_RSRC2:TGID_X_EN: 1
; COMPUTE_PGM_RSRC2:TGID_Y_EN: 0
; COMPUTE_PGM_RSRC2:TGID_Z_EN: 1
; COMPUTE_PGM_RSRC2:TIDIG_COMP_CNT: 1
	.section	.text._ZN9rocsolver6v33100L23getf2_npvt_panel_kernelI19rocblas_complex_numIdEllPKPS3_EEvT0_S7_T2_lS7_lPT1_S7_S7_,"axG",@progbits,_ZN9rocsolver6v33100L23getf2_npvt_panel_kernelI19rocblas_complex_numIdEllPKPS3_EEvT0_S7_T2_lS7_lPT1_S7_S7_,comdat
	.globl	_ZN9rocsolver6v33100L23getf2_npvt_panel_kernelI19rocblas_complex_numIdEllPKPS3_EEvT0_S7_T2_lS7_lPT1_S7_S7_ ; -- Begin function _ZN9rocsolver6v33100L23getf2_npvt_panel_kernelI19rocblas_complex_numIdEllPKPS3_EEvT0_S7_T2_lS7_lPT1_S7_S7_
	.p2align	8
	.type	_ZN9rocsolver6v33100L23getf2_npvt_panel_kernelI19rocblas_complex_numIdEllPKPS3_EEvT0_S7_T2_lS7_lPT1_S7_S7_,@function
_ZN9rocsolver6v33100L23getf2_npvt_panel_kernelI19rocblas_complex_numIdEllPKPS3_EEvT0_S7_T2_lS7_lPT1_S7_S7_: ; @_ZN9rocsolver6v33100L23getf2_npvt_panel_kernelI19rocblas_complex_numIdEllPKPS3_EEvT0_S7_T2_lS7_lPT1_S7_S7_
; %bb.0:
	s_load_b256 s[4:11], s[0:1], 0x0
	s_bfe_u32 s2, ttmp6, 0x40014
	s_lshr_b32 s3, ttmp7, 16
	s_add_co_i32 s2, s2, 1
	s_bfe_u32 s12, ttmp6, 0x40008
	s_mul_i32 s2, s3, s2
	s_getreg_b32 s13, hwreg(HW_REG_IB_STS2, 6, 4)
	s_add_co_i32 s12, s12, s2
	s_cmp_eq_u32 s13, 0
	v_bfe_u32 v8, v0, 10, 10
	s_cselect_b32 s24, s3, s12
	v_and_b32_e32 v4, 0x3ff, v0
	v_mov_b32_e32 v5, 0
	s_wait_kmcnt 0x0
	s_load_b64 s[18:19], s[8:9], s24 offset:0x0 scale_offset
	s_clause 0x1
	s_load_b64 s[12:13], s[0:1], 0x20
	s_load_b32 s3, s[0:1], 0x54
	v_cmp_eq_u32_e64 s2, 0, v8
	s_lshl_b64 s[10:11], s[10:11], 4
	s_wait_kmcnt 0x0
	s_add_nc_u64 s[8:9], s[18:19], s[10:11]
	s_and_saveexec_b32 s14, s2
	s_cbranch_execz .LBB9_4
; %bb.1:
	v_mov_b64_e32 v[0:1], 0
	v_mov_b64_e32 v[2:3], 0
	s_mov_b32 s15, exec_lo
	v_cmpx_gt_i64_e64 s[4:5], v[4:5]
	s_cbranch_execz .LBB9_3
; %bb.2:
	flat_load_b128 v[0:3], v4, s[8:9] scale_offset
.LBB9_3:
	s_wait_xcnt 0x0
	s_or_b32 exec_lo, exec_lo, s15
	v_lshl_add_u32 v6, v4, 4, 0
	s_wait_loadcnt_dscnt 0x0
	ds_store_2addr_b64 v6, v[0:1], v[2:3] offset1:1
.LBB9_4:
	s_or_b32 exec_lo, exec_lo, s14
	v_cmp_lt_i64_e64 s14, s[6:7], 1
	s_and_b32 vcc_lo, exec_lo, s14
	s_cbranch_vccnz .LBB9_30
; %bb.5:
	v_dual_mov_b32 v1, 0 :: v_dual_add_nc_u32 v6, 2, v8
	v_mul_u64_e32 v[10:11], s[12:13], v[4:5]
	v_lshlrev_b32_e32 v14, 4, v8
	s_lshr_b32 s14, s3, 16
	s_delay_alu instid0(VALU_DEP_3) | instskip(SKIP_3) | instid1(VALU_DEP_2)
	v_dual_mov_b32 v7, v1 :: v_dual_lshlrev_b32 v0, 4, v4
	v_cmp_gt_u64_e32 vcc_lo, s[6:7], v[4:5]
	s_add_nc_u64 s[16:17], s[6:7], -1
	s_lshl_b32 s27, s14, 4
	v_mul_u64_e32 v[2:3], s[12:13], v[6:7]
	v_add_nc_u64_e32 v[8:9], s[8:9], v[0:1]
	s_mov_b64 s[22:23], 0
	s_and_b32 s26, s2, vcc_lo
	v_lshl_add_u64 v[10:11], v[10:11], 4, s[8:9]
	s_mov_b64 s[8:9], 0
	s_delay_alu instid0(VALU_DEP_3)
	v_lshl_add_u64 v[2:3], v[2:3], 4, s[10:11]
	s_and_b32 s11, s3, 0xffff
	v_cmp_gt_i64_e64 s3, s[4:5], v[4:5]
	s_lshl_b32 s4, s11, 4
	s_mov_b32 s10, 0
	v_add_nc_u64_e32 v[2:3], v[2:3], v[0:1]
	s_add_co_i32 s25, s4, 0
	s_mov_b32 s15, s10
	v_dual_add_nc_u32 v18, 0, v0 :: v_dual_add_nc_u32 v19, s25, v0
	v_add3_u32 v20, s25, v14, 32
	s_mul_u64 s[4:5], s[12:13], s[14:15]
	s_delay_alu instid0(VALU_DEP_3) | instskip(SKIP_2) | instid1(VALU_DEP_1)
	v_add_nc_u64_e32 v[2:3], s[18:19], v[2:3]
	s_lshl_b64 s[18:19], s[12:13], 4
	s_lshl_b64 s[20:21], s[4:5], 4
	v_add_nc_u64_e32 v[12:13], 8, v[2:3]
.LBB9_6:                                ; =>This Loop Header: Depth=1
                                        ;     Child Loop BB9_20 Depth 2
	s_lshl_b32 s11, s22, 4
	s_wait_dscnt 0x0
	s_add_co_i32 s4, s11, 0
	s_barrier_signal -1
	v_mov_b32_e32 v0, s4
	s_barrier_wait -1
	ds_load_2addr_b64 v[0:3], v0 offset1:1
	s_wait_dscnt 0x0
	v_cmp_eq_f64_e32 vcc_lo, 0, v[0:1]
	v_cmp_eq_f64_e64 s4, 0, v[2:3]
	s_and_b32 s4, vcc_lo, s4
	s_cmp_eq_u64 s[8:9], 0
	s_cselect_b32 s5, -1, 0
	s_delay_alu instid0(SALU_CYCLE_1) | instskip(NEXT) | instid1(SALU_CYCLE_1)
	s_and_b32 s4, s4, s5
	s_and_not1_b32 vcc_lo, exec_lo, s4
	s_cbranch_vccz .LBB9_9
; %bb.7:                                ;   in Loop: Header=BB9_6 Depth=1
	v_cmp_ngt_f64_e64 s4, |v[0:1]|, |v[2:3]|
	s_and_b32 vcc_lo, exec_lo, s4
	s_cbranch_vccz .LBB9_10
; %bb.8:                                ;   in Loop: Header=BB9_6 Depth=1
	v_div_scale_f64 v[14:15], null, v[2:3], v[2:3], v[0:1]
	v_div_scale_f64 v[24:25], vcc_lo, v[0:1], v[2:3], v[0:1]
	s_delay_alu instid0(VALU_DEP_2) | instskip(SKIP_1) | instid1(TRANS32_DEP_1)
	v_rcp_f64_e32 v[16:17], v[14:15]
	v_nop
	v_fma_f64 v[22:23], -v[14:15], v[16:17], 1.0
	s_delay_alu instid0(VALU_DEP_1) | instskip(NEXT) | instid1(VALU_DEP_1)
	v_fmac_f64_e32 v[16:17], v[16:17], v[22:23]
	v_fma_f64 v[22:23], -v[14:15], v[16:17], 1.0
	s_delay_alu instid0(VALU_DEP_1) | instskip(NEXT) | instid1(VALU_DEP_1)
	v_fmac_f64_e32 v[16:17], v[16:17], v[22:23]
	v_mul_f64_e32 v[22:23], v[24:25], v[16:17]
	s_delay_alu instid0(VALU_DEP_1) | instskip(NEXT) | instid1(VALU_DEP_1)
	v_fma_f64 v[14:15], -v[14:15], v[22:23], v[24:25]
	v_div_fmas_f64 v[14:15], v[14:15], v[16:17], v[22:23]
	s_delay_alu instid0(VALU_DEP_1) | instskip(NEXT) | instid1(VALU_DEP_1)
	v_div_fixup_f64 v[16:17], v[14:15], v[2:3], v[0:1]
	v_fma_f64 v[14:15], v[0:1], v[16:17], v[2:3]
	s_delay_alu instid0(VALU_DEP_1) | instskip(NEXT) | instid1(VALU_DEP_1)
	v_div_scale_f64 v[22:23], null, v[14:15], v[14:15], 1.0
	v_rcp_f64_e32 v[24:25], v[22:23]
	v_nop
	s_delay_alu instid0(TRANS32_DEP_1) | instskip(NEXT) | instid1(VALU_DEP_1)
	v_fma_f64 v[26:27], -v[22:23], v[24:25], 1.0
	v_fmac_f64_e32 v[24:25], v[24:25], v[26:27]
	s_delay_alu instid0(VALU_DEP_1) | instskip(NEXT) | instid1(VALU_DEP_1)
	v_fma_f64 v[26:27], -v[22:23], v[24:25], 1.0
	v_fmac_f64_e32 v[24:25], v[24:25], v[26:27]
	v_div_scale_f64 v[26:27], vcc_lo, 1.0, v[14:15], 1.0
	s_delay_alu instid0(VALU_DEP_1) | instskip(NEXT) | instid1(VALU_DEP_1)
	v_mul_f64_e32 v[28:29], v[26:27], v[24:25]
	v_fma_f64 v[22:23], -v[22:23], v[28:29], v[26:27]
	s_delay_alu instid0(VALU_DEP_1) | instskip(NEXT) | instid1(VALU_DEP_1)
	v_div_fmas_f64 v[22:23], v[22:23], v[24:25], v[28:29]
	v_div_fixup_f64 v[14:15], v[22:23], v[14:15], 1.0
	s_delay_alu instid0(VALU_DEP_1)
	v_mul_f64_e32 v[16:17], v[16:17], v[14:15]
	v_xor_b32_e32 v15, 0x80000000, v15
	s_cbranch_execz .LBB9_11
	s_branch .LBB9_12
.LBB9_9:                                ;   in Loop: Header=BB9_6 Depth=1
                                        ; implicit-def: $vgpr14_vgpr15
                                        ; implicit-def: $vgpr16_vgpr17
	s_add_nc_u64 s[4:5], s[22:23], 1
	s_branch .LBB9_13
.LBB9_10:                               ;   in Loop: Header=BB9_6 Depth=1
                                        ; implicit-def: $vgpr14_vgpr15
                                        ; implicit-def: $vgpr16_vgpr17
.LBB9_11:                               ;   in Loop: Header=BB9_6 Depth=1
	v_div_scale_f64 v[14:15], null, v[0:1], v[0:1], v[2:3]
	v_div_scale_f64 v[24:25], vcc_lo, v[2:3], v[0:1], v[2:3]
	s_delay_alu instid0(VALU_DEP_2) | instskip(SKIP_1) | instid1(TRANS32_DEP_1)
	v_rcp_f64_e32 v[16:17], v[14:15]
	v_nop
	v_fma_f64 v[22:23], -v[14:15], v[16:17], 1.0
	s_delay_alu instid0(VALU_DEP_1) | instskip(NEXT) | instid1(VALU_DEP_1)
	v_fmac_f64_e32 v[16:17], v[16:17], v[22:23]
	v_fma_f64 v[22:23], -v[14:15], v[16:17], 1.0
	s_delay_alu instid0(VALU_DEP_1) | instskip(NEXT) | instid1(VALU_DEP_1)
	v_fmac_f64_e32 v[16:17], v[16:17], v[22:23]
	v_mul_f64_e32 v[22:23], v[24:25], v[16:17]
	s_delay_alu instid0(VALU_DEP_1) | instskip(NEXT) | instid1(VALU_DEP_1)
	v_fma_f64 v[14:15], -v[14:15], v[22:23], v[24:25]
	v_div_fmas_f64 v[14:15], v[14:15], v[16:17], v[22:23]
	s_delay_alu instid0(VALU_DEP_1) | instskip(NEXT) | instid1(VALU_DEP_1)
	v_div_fixup_f64 v[14:15], v[14:15], v[0:1], v[2:3]
	v_fma_f64 v[16:17], v[2:3], v[14:15], v[0:1]
	s_delay_alu instid0(VALU_DEP_1) | instskip(NEXT) | instid1(VALU_DEP_1)
	v_div_scale_f64 v[22:23], null, v[16:17], v[16:17], 1.0
	v_rcp_f64_e32 v[24:25], v[22:23]
	v_nop
	s_delay_alu instid0(TRANS32_DEP_1) | instskip(NEXT) | instid1(VALU_DEP_1)
	v_fma_f64 v[26:27], -v[22:23], v[24:25], 1.0
	v_fmac_f64_e32 v[24:25], v[24:25], v[26:27]
	s_delay_alu instid0(VALU_DEP_1) | instskip(NEXT) | instid1(VALU_DEP_1)
	v_fma_f64 v[26:27], -v[22:23], v[24:25], 1.0
	v_fmac_f64_e32 v[24:25], v[24:25], v[26:27]
	v_div_scale_f64 v[26:27], vcc_lo, 1.0, v[16:17], 1.0
	s_delay_alu instid0(VALU_DEP_1) | instskip(NEXT) | instid1(VALU_DEP_1)
	v_mul_f64_e32 v[28:29], v[26:27], v[24:25]
	v_fma_f64 v[22:23], -v[22:23], v[28:29], v[26:27]
	s_delay_alu instid0(VALU_DEP_1) | instskip(NEXT) | instid1(VALU_DEP_1)
	v_div_fmas_f64 v[22:23], v[22:23], v[24:25], v[28:29]
	v_div_fixup_f64 v[16:17], v[22:23], v[16:17], 1.0
	s_delay_alu instid0(VALU_DEP_1)
	v_mul_f64_e64 v[14:15], v[14:15], -v[16:17]
.LBB9_12:                               ;   in Loop: Header=BB9_6 Depth=1
	s_add_nc_u64 s[4:5], s[22:23], 1
	s_cbranch_execnz .LBB9_14
.LBB9_13:                               ;   in Loop: Header=BB9_6 Depth=1
	v_mov_b64_e32 v[16:17], v[0:1]
	v_mov_b64_e32 v[14:15], v[2:3]
	s_add_nc_u64 s[8:9], s[22:23], 1
.LBB9_14:                               ;   in Loop: Header=BB9_6 Depth=1
	s_mov_b32 s28, exec_lo
	v_cmpx_ne_u64_e64 s[22:23], v[4:5]
	s_cbranch_execnz .LBB9_27
; %bb.15:                               ;   in Loop: Header=BB9_6 Depth=1
	s_or_b32 exec_lo, exec_lo, s28
	s_and_saveexec_b32 s28, s26
	s_cbranch_execz .LBB9_17
.LBB9_16:                               ;   in Loop: Header=BB9_6 Depth=1
	v_lshl_add_u64 v[0:1], s[22:23], 4, v[10:11]
	flat_load_b128 v[0:3], v[0:1]
	s_wait_loadcnt_dscnt 0x0
	ds_store_2addr_b64 v19, v[0:1], v[2:3] offset1:1
.LBB9_17:                               ;   in Loop: Header=BB9_6 Depth=1
	s_wait_xcnt 0x0
	s_or_b32 exec_lo, exec_lo, s28
	v_cmp_lt_u64_e32 vcc_lo, s[22:23], v[4:5]
	s_wait_storecnt_dscnt 0x0
	s_barrier_signal -1
	s_barrier_wait -1
	s_and_b32 s29, s3, vcc_lo
	s_delay_alu instid0(SALU_CYCLE_1)
	s_and_saveexec_b32 s28, s29
	s_cbranch_execz .LBB9_23
; %bb.18:                               ;   in Loop: Header=BB9_6 Depth=1
	v_add_nc_u64_e32 v[0:1], s[22:23], v[6:7]
	s_mov_b32 s29, exec_lo
	s_delay_alu instid0(VALU_DEP_1)
	v_cmpx_gt_i64_e64 s[6:7], v[0:1]
	s_cbranch_execz .LBB9_21
; %bb.19:                               ;   in Loop: Header=BB9_6 Depth=1
	v_mov_b64_e32 v[2:3], v[12:13]
	v_mov_b32_e32 v21, v20
	s_mov_b32 s30, 0
.LBB9_20:                               ;   Parent Loop BB9_6 Depth=1
                                        ; =>  This Inner Loop Header: Depth=2
	flat_load_b128 v[22:25], v[2:3] offset:-8
	ds_load_2addr_b64 v[26:29], v21 offset1:1
	v_add_nc_u64_e32 v[0:1], s[14:15], v[0:1]
	v_add_nc_u32_e32 v21, s27, v21
	s_delay_alu instid0(VALU_DEP_2) | instskip(SKIP_4) | instid1(VALU_DEP_2)
	v_cmp_le_i64_e32 vcc_lo, s[6:7], v[0:1]
	s_or_b32 s30, vcc_lo, s30
	s_wait_dscnt 0x0
	v_mul_f64_e32 v[30:31], v[14:15], v[28:29]
	v_mul_f64_e32 v[28:29], v[16:17], v[28:29]
	v_fma_f64 v[30:31], v[16:17], v[26:27], -v[30:31]
	s_delay_alu instid0(VALU_DEP_2) | instskip(SKIP_1) | instid1(VALU_DEP_2)
	v_fmac_f64_e32 v[28:29], v[14:15], v[26:27]
	s_wait_loadcnt 0x0
	v_add_f64_e64 v[22:23], v[22:23], -v[30:31]
	s_delay_alu instid0(VALU_DEP_2)
	v_add_f64_e64 v[24:25], v[24:25], -v[28:29]
	flat_store_b128 v[2:3], v[22:25] offset:-8
	s_wait_xcnt 0x0
	v_add_nc_u64_e32 v[2:3], s[20:21], v[2:3]
	s_and_not1_b32 exec_lo, exec_lo, s30
	s_cbranch_execnz .LBB9_20
.LBB9_21:                               ;   in Loop: Header=BB9_6 Depth=1
	s_or_b32 exec_lo, exec_lo, s29
	v_cmp_lt_i64_e64 s29, s[22:23], s[16:17]
	s_and_b32 s29, s2, s29
	s_delay_alu instid0(SALU_CYCLE_1)
	s_and_b32 exec_lo, exec_lo, s29
	s_cbranch_execz .LBB9_23
; %bb.22:                               ;   in Loop: Header=BB9_6 Depth=1
	s_add_nc_u64 s[30:31], s[22:23], 1
	s_add_co_i32 s11, s25, s11
	s_mul_u64 s[30:31], s[30:31], s[12:13]
	v_mov_b32_e32 v21, s11
	v_lshl_add_u64 v[26:27], s[30:31], 4, v[8:9]
	ds_load_2addr_b64 v[22:25], v21 offset0:2 offset1:3
	flat_load_b128 v[0:3], v[26:27]
	s_wait_dscnt 0x1
	v_mul_f64_e32 v[28:29], v[14:15], v[24:25]
	v_mul_f64_e32 v[24:25], v[16:17], v[24:25]
	s_delay_alu instid0(VALU_DEP_2) | instskip(NEXT) | instid1(VALU_DEP_2)
	v_fma_f64 v[16:17], v[16:17], v[22:23], -v[28:29]
	v_fmac_f64_e32 v[24:25], v[14:15], v[22:23]
	s_wait_loadcnt_dscnt 0x0
	s_delay_alu instid0(VALU_DEP_2) | instskip(NEXT) | instid1(VALU_DEP_2)
	v_add_f64_e64 v[0:1], v[0:1], -v[16:17]
	v_add_f64_e64 v[2:3], v[2:3], -v[24:25]
	flat_store_b128 v[26:27], v[0:3]
	ds_store_2addr_b64 v18, v[0:1], v[2:3] offset1:1
.LBB9_23:                               ;   in Loop: Header=BB9_6 Depth=1
	s_wait_xcnt 0x0
	s_or_b32 exec_lo, exec_lo, s28
	v_cmp_ge_u64_e32 vcc_lo, s[22:23], v[4:5]
	s_and_b32 s11, s2, vcc_lo
	s_delay_alu instid0(SALU_CYCLE_1)
	s_and_saveexec_b32 s22, s11
	s_cbranch_execz .LBB9_25
; %bb.24:                               ;   in Loop: Header=BB9_6 Depth=1
	s_mov_b32 s11, s10
	s_mov_b32 s28, s10
	;; [unrolled: 1-line block ×3, first 2 shown]
	v_mov_b64_e32 v[0:1], s[10:11]
	v_mov_b64_e32 v[2:3], s[28:29]
	ds_store_2addr_b64 v18, v[0:1], v[2:3] offset1:1
.LBB9_25:                               ;   in Loop: Header=BB9_6 Depth=1
	s_or_b32 exec_lo, exec_lo, s22
	v_add_nc_u64_e32 v[12:13], s[18:19], v[12:13]
	v_add_nc_u32_e32 v20, 16, v20
	s_cmp_eq_u64 s[4:5], s[6:7]
	s_cbranch_scc1 .LBB9_31
; %bb.26:                               ;   in Loop: Header=BB9_6 Depth=1
	s_mov_b64 s[22:23], s[4:5]
	s_branch .LBB9_6
.LBB9_27:                               ;   in Loop: Header=BB9_6 Depth=1
	ds_load_2addr_b64 v[22:25], v18 offset1:1
	v_cmp_le_u64_e32 vcc_lo, s[22:23], v[4:5]
	s_and_b32 s29, s3, vcc_lo
	s_delay_alu instid0(SALU_CYCLE_1) | instskip(SKIP_3) | instid1(VALU_DEP_2)
	s_and_b32 s30, s2, s29
	s_wait_dscnt 0x0
	v_mul_f64_e32 v[0:1], v[14:15], v[24:25]
	v_mul_f64_e32 v[2:3], v[16:17], v[24:25]
	v_fma_f64 v[0:1], v[16:17], v[22:23], -v[0:1]
	s_delay_alu instid0(VALU_DEP_2)
	v_fmac_f64_e32 v[2:3], v[14:15], v[22:23]
	s_and_saveexec_b32 s29, s30
	s_cbranch_execz .LBB9_29
; %bb.28:                               ;   in Loop: Header=BB9_6 Depth=1
	s_mul_u64 s[30:31], s[22:23], s[12:13]
	s_delay_alu instid0(SALU_CYCLE_1)
	v_lshl_add_u64 v[14:15], s[30:31], 4, v[8:9]
	flat_store_b128 v[14:15], v[0:3]
.LBB9_29:                               ;   in Loop: Header=BB9_6 Depth=1
	s_wait_xcnt 0x0
	s_or_b32 exec_lo, exec_lo, s29
	s_delay_alu instid0(VALU_DEP_2) | instskip(NEXT) | instid1(VALU_DEP_2)
	v_mov_b64_e32 v[16:17], v[0:1]
	v_mov_b64_e32 v[14:15], v[2:3]
	s_or_b32 exec_lo, exec_lo, s28
	s_and_saveexec_b32 s28, s26
	s_cbranch_execnz .LBB9_16
	s_branch .LBB9_17
.LBB9_30:
	s_mov_b64 s[8:9], 0
.LBB9_31:
	s_mov_b32 s3, 0
	s_mov_b32 s4, exec_lo
	v_cmpx_eq_u32_e32 0, v4
	s_cbranch_execz .LBB9_34
; %bb.32:
	s_load_b64 s[4:5], s[0:1], 0x30
	v_mov_b32_e32 v0, s24
	v_cmp_gt_i64_e64 s10, s[8:9], 0
	s_wait_kmcnt 0x0
	global_load_b64 v[0:1], v0, s[4:5] scale_offset
	s_wait_loadcnt 0x0
	v_readfirstlane_b32 s6, v0
	v_readfirstlane_b32 s7, v1
	s_cmp_eq_u64 s[6:7], 0
	s_cselect_b32 s6, -1, 0
	s_delay_alu instid0(SALU_CYCLE_1) | instskip(NEXT) | instid1(SALU_CYCLE_1)
	s_and_b32 s6, s6, s10
	s_and_b32 s2, s2, s6
	s_wait_xcnt 0x0
	s_and_b32 exec_lo, exec_lo, s2
	s_cbranch_execz .LBB9_34
; %bb.33:
	s_load_b64 s[0:1], s[0:1], 0x40
	v_mov_b32_e32 v2, 0
	s_lshl_b32 s2, s24, 3
	s_wait_kmcnt 0x0
	s_add_nc_u64 s[0:1], s[8:9], s[0:1]
	s_delay_alu instid0(SALU_CYCLE_1)
	v_mov_b64_e32 v[0:1], s[0:1]
	s_add_nc_u64 s[0:1], s[4:5], s[2:3]
	global_store_b64 v2, v[0:1], s[0:1]
.LBB9_34:
	s_endpgm
	.section	.rodata,"a",@progbits
	.p2align	6, 0x0
	.amdhsa_kernel _ZN9rocsolver6v33100L23getf2_npvt_panel_kernelI19rocblas_complex_numIdEllPKPS3_EEvT0_S7_T2_lS7_lPT1_S7_S7_
		.amdhsa_group_segment_fixed_size 0
		.amdhsa_private_segment_fixed_size 0
		.amdhsa_kernarg_size 328
		.amdhsa_user_sgpr_count 2
		.amdhsa_user_sgpr_dispatch_ptr 0
		.amdhsa_user_sgpr_queue_ptr 0
		.amdhsa_user_sgpr_kernarg_segment_ptr 1
		.amdhsa_user_sgpr_dispatch_id 0
		.amdhsa_user_sgpr_kernarg_preload_length 0
		.amdhsa_user_sgpr_kernarg_preload_offset 0
		.amdhsa_user_sgpr_private_segment_size 0
		.amdhsa_wavefront_size32 1
		.amdhsa_uses_dynamic_stack 0
		.amdhsa_enable_private_segment 0
		.amdhsa_system_sgpr_workgroup_id_x 1
		.amdhsa_system_sgpr_workgroup_id_y 0
		.amdhsa_system_sgpr_workgroup_id_z 1
		.amdhsa_system_sgpr_workgroup_info 0
		.amdhsa_system_vgpr_workitem_id 1
		.amdhsa_next_free_vgpr 32
		.amdhsa_next_free_sgpr 32
		.amdhsa_named_barrier_count 0
		.amdhsa_reserve_vcc 1
		.amdhsa_float_round_mode_32 0
		.amdhsa_float_round_mode_16_64 0
		.amdhsa_float_denorm_mode_32 3
		.amdhsa_float_denorm_mode_16_64 3
		.amdhsa_fp16_overflow 0
		.amdhsa_memory_ordered 1
		.amdhsa_forward_progress 1
		.amdhsa_inst_pref_size 14
		.amdhsa_round_robin_scheduling 0
		.amdhsa_exception_fp_ieee_invalid_op 0
		.amdhsa_exception_fp_denorm_src 0
		.amdhsa_exception_fp_ieee_div_zero 0
		.amdhsa_exception_fp_ieee_overflow 0
		.amdhsa_exception_fp_ieee_underflow 0
		.amdhsa_exception_fp_ieee_inexact 0
		.amdhsa_exception_int_div_zero 0
	.end_amdhsa_kernel
	.section	.text._ZN9rocsolver6v33100L23getf2_npvt_panel_kernelI19rocblas_complex_numIdEllPKPS3_EEvT0_S7_T2_lS7_lPT1_S7_S7_,"axG",@progbits,_ZN9rocsolver6v33100L23getf2_npvt_panel_kernelI19rocblas_complex_numIdEllPKPS3_EEvT0_S7_T2_lS7_lPT1_S7_S7_,comdat
.Lfunc_end9:
	.size	_ZN9rocsolver6v33100L23getf2_npvt_panel_kernelI19rocblas_complex_numIdEllPKPS3_EEvT0_S7_T2_lS7_lPT1_S7_S7_, .Lfunc_end9-_ZN9rocsolver6v33100L23getf2_npvt_panel_kernelI19rocblas_complex_numIdEllPKPS3_EEvT0_S7_T2_lS7_lPT1_S7_S7_
                                        ; -- End function
	.set _ZN9rocsolver6v33100L23getf2_npvt_panel_kernelI19rocblas_complex_numIdEllPKPS3_EEvT0_S7_T2_lS7_lPT1_S7_S7_.num_vgpr, 32
	.set _ZN9rocsolver6v33100L23getf2_npvt_panel_kernelI19rocblas_complex_numIdEllPKPS3_EEvT0_S7_T2_lS7_lPT1_S7_S7_.num_agpr, 0
	.set _ZN9rocsolver6v33100L23getf2_npvt_panel_kernelI19rocblas_complex_numIdEllPKPS3_EEvT0_S7_T2_lS7_lPT1_S7_S7_.numbered_sgpr, 32
	.set _ZN9rocsolver6v33100L23getf2_npvt_panel_kernelI19rocblas_complex_numIdEllPKPS3_EEvT0_S7_T2_lS7_lPT1_S7_S7_.num_named_barrier, 0
	.set _ZN9rocsolver6v33100L23getf2_npvt_panel_kernelI19rocblas_complex_numIdEllPKPS3_EEvT0_S7_T2_lS7_lPT1_S7_S7_.private_seg_size, 0
	.set _ZN9rocsolver6v33100L23getf2_npvt_panel_kernelI19rocblas_complex_numIdEllPKPS3_EEvT0_S7_T2_lS7_lPT1_S7_S7_.uses_vcc, 1
	.set _ZN9rocsolver6v33100L23getf2_npvt_panel_kernelI19rocblas_complex_numIdEllPKPS3_EEvT0_S7_T2_lS7_lPT1_S7_S7_.uses_flat_scratch, 0
	.set _ZN9rocsolver6v33100L23getf2_npvt_panel_kernelI19rocblas_complex_numIdEllPKPS3_EEvT0_S7_T2_lS7_lPT1_S7_S7_.has_dyn_sized_stack, 0
	.set _ZN9rocsolver6v33100L23getf2_npvt_panel_kernelI19rocblas_complex_numIdEllPKPS3_EEvT0_S7_T2_lS7_lPT1_S7_S7_.has_recursion, 0
	.set _ZN9rocsolver6v33100L23getf2_npvt_panel_kernelI19rocblas_complex_numIdEllPKPS3_EEvT0_S7_T2_lS7_lPT1_S7_S7_.has_indirect_call, 0
	.section	.AMDGPU.csdata,"",@progbits
; Kernel info:
; codeLenInByte = 1696
; TotalNumSgprs: 34
; NumVgprs: 32
; ScratchSize: 0
; MemoryBound: 1
; FloatMode: 240
; IeeeMode: 1
; LDSByteSize: 0 bytes/workgroup (compile time only)
; SGPRBlocks: 0
; VGPRBlocks: 1
; NumSGPRsForWavesPerEU: 34
; NumVGPRsForWavesPerEU: 32
; NamedBarCnt: 0
; Occupancy: 16
; WaveLimiterHint : 1
; COMPUTE_PGM_RSRC2:SCRATCH_EN: 0
; COMPUTE_PGM_RSRC2:USER_SGPR: 2
; COMPUTE_PGM_RSRC2:TRAP_HANDLER: 0
; COMPUTE_PGM_RSRC2:TGID_X_EN: 1
; COMPUTE_PGM_RSRC2:TGID_Y_EN: 0
; COMPUTE_PGM_RSRC2:TGID_Z_EN: 1
; COMPUTE_PGM_RSRC2:TIDIG_COMP_CNT: 1
	.section	.text._ZN9rocsolver6v33100L25getf2_scale_update_kernelI19rocblas_complex_numIdElPS3_EEvT0_S5_PT_T1_lS5_l,"axG",@progbits,_ZN9rocsolver6v33100L25getf2_scale_update_kernelI19rocblas_complex_numIdElPS3_EEvT0_S5_PT_T1_lS5_l,comdat
	.globl	_ZN9rocsolver6v33100L25getf2_scale_update_kernelI19rocblas_complex_numIdElPS3_EEvT0_S5_PT_T1_lS5_l ; -- Begin function _ZN9rocsolver6v33100L25getf2_scale_update_kernelI19rocblas_complex_numIdElPS3_EEvT0_S5_PT_T1_lS5_l
	.p2align	8
	.type	_ZN9rocsolver6v33100L25getf2_scale_update_kernelI19rocblas_complex_numIdElPS3_EEvT0_S5_PT_T1_lS5_l,@function
_ZN9rocsolver6v33100L25getf2_scale_update_kernelI19rocblas_complex_numIdElPS3_EEvT0_S5_PT_T1_lS5_l: ; @_ZN9rocsolver6v33100L25getf2_scale_update_kernelI19rocblas_complex_numIdElPS3_EEvT0_S5_PT_T1_lS5_l
; %bb.0:
	s_clause 0x2
	s_load_b32 s3, s[0:1], 0x44
	s_load_b256 s[12:19], s[0:1], 0x20
	s_load_b256 s[4:11], s[0:1], 0x0
	s_wait_xcnt 0x0
	s_bfe_u32 s0, ttmp6, 0x40014
	s_lshr_b32 s2, ttmp7, 16
	s_wait_kmcnt 0x0
	s_add_co_i32 s18, s0, 1
	s_bfe_u32 s1, ttmp6, 0x40008
	s_mul_i32 s18, s2, s18
	s_getreg_b32 s0, hwreg(HW_REG_IB_STS2, 6, 4)
	s_add_co_i32 s1, s1, s18
	s_cmp_eq_u32 s0, 0
	v_and_b32_e32 v2, 0x3ff, v0
	v_bfe_u32 v4, v0, 10, 10
	v_mov_b32_e32 v5, 0
	s_cselect_b32 s18, s2, s1
	s_mov_b32 s19, 0
	s_delay_alu instid0(VALU_DEP_1)
	v_mov_b32_e32 v1, v5
	s_lshr_b32 s2, s3, 16
	s_mul_u64 s[16:17], s[16:17], s[18:19]
	v_mad_u32_u24 v0, v2, s2, v4
	s_lshl_b64 s[16:17], s[16:17], 4
	s_lshl_b64 s[12:13], s[12:13], 4
	s_add_nc_u64 s[20:21], s[10:11], s[16:17]
	s_and_b32 s1, s3, 0xffff
	s_add_nc_u64 s[20:21], s[20:21], s[12:13]
	s_mov_b32 s3, exec_lo
	v_cmpx_gt_i64_e64 s[6:7], v[0:1]
	s_cbranch_execz .LBB10_2
; %bb.1:
	v_mul_u64_e32 v[6:7], s[14:15], v[0:1]
	s_lshl_b64 s[22:23], s[14:15], 4
	v_lshlrev_b32_e32 v0, 4, v0
	s_add_nc_u64 s[22:23], s[20:21], s[22:23]
	s_lshl_b32 s19, s1, 4
	s_delay_alu instid0(VALU_DEP_1) | instid1(SALU_CYCLE_1)
	v_add3_u32 v0, 0, s19, v0
	s_delay_alu instid0(VALU_DEP_3)
	v_lshl_add_u64 v[6:7], v[6:7], 4, s[22:23]
	global_load_b128 v[6:9], v[6:7], off
	s_wait_loadcnt 0x0
	ds_store_2addr_b64 v0, v[6:7], v[8:9] offset1:1
.LBB10_2:
	s_or_b32 exec_lo, exec_lo, s3
	s_bfe_u32 s3, ttmp6, 0x4000c
	s_and_b32 s19, ttmp6, 15
	s_add_co_i32 s3, s3, 1
	v_mov_b32_e32 v3, v5
	s_mul_i32 s3, ttmp9, s3
	v_lshl_add_u32 v0, v2, 4, 0
	s_add_co_i32 s19, s19, s3
	s_cmp_eq_u32 s0, 0
	s_cselect_b32 s0, ttmp9, s19
	s_delay_alu instid0(SALU_CYCLE_1) | instskip(SKIP_1) | instid1(VALU_DEP_2)
	v_mad_nc_u64_u32 v[6:7], s1, s0, v[2:3]
	v_cmp_eq_u32_e64 s0, 0, v4
	v_cmp_gt_i64_e32 vcc_lo, s[4:5], v[6:7]
	s_and_b32 s3, s0, vcc_lo
	s_delay_alu instid0(SALU_CYCLE_1)
	s_and_saveexec_b32 s0, s3
	s_cbranch_execz .LBB10_4
; %bb.3:
	v_lshl_add_u64 v[2:3], v[6:7], 4, s[20:21]
	s_load_b128 s[20:23], s[8:9], s18 offset:0x0 scale_offset
	global_load_b128 v[8:11], v[2:3], off offset:16
	s_wait_loadcnt 0x0
	s_wait_kmcnt 0x0
	v_mul_f64_e32 v[14:15], s[22:23], v[10:11]
	v_mul_f64_e32 v[12:13], s[20:21], v[10:11]
	s_delay_alu instid0(VALU_DEP_2) | instskip(NEXT) | instid1(VALU_DEP_2)
	v_fma_f64 v[10:11], s[20:21], v[8:9], -v[14:15]
	v_fmac_f64_e32 v[12:13], s[22:23], v[8:9]
	ds_store_2addr_b64 v0, v[10:11], v[12:13] offset1:1
	global_store_b128 v[2:3], v[10:13], off offset:16
.LBB10_4:
	s_wait_xcnt 0x0
	s_or_b32 exec_lo, exec_lo, s0
	v_cmp_gt_i64_e64 s0, s[6:7], v[4:5]
	s_wait_storecnt_dscnt 0x0
	s_barrier_signal -1
	s_barrier_wait -1
	s_and_b32 s0, vcc_lo, s0
	s_delay_alu instid0(SALU_CYCLE_1)
	s_and_saveexec_b32 s3, s0
	s_cbranch_execz .LBB10_7
; %bb.5:
	v_lshlrev_b32_e32 v10, 4, v4
	s_add_nc_u64 s[4:5], s[12:13], s[16:17]
	s_mov_b32 s3, 0
	s_delay_alu instid0(VALU_DEP_1) | instskip(NEXT) | instid1(VALU_DEP_1)
	v_add_nc_u32_e32 v1, 16, v10
	v_mad_nc_u64_u32 v[8:9], s14, v1, s[4:5]
	s_lshl_b32 s4, s1, 4
	s_mul_u64 s[0:1], s[14:15], s[2:3]
	s_mov_b32 s5, s3
	s_lshl_b64 s[0:1], s[0:1], 4
	s_delay_alu instid0(VALU_DEP_1) | instskip(SKIP_4) | instid1(VALU_DEP_2)
	v_mad_u32 v9, s15, v1, v9
	ds_load_2addr_b64 v[0:3], v0 offset1:1
	v_lshl_add_u64 v[6:7], v[6:7], 4, v[8:9]
	v_add3_u32 v8, 0, s4, v10
	s_lshl_b32 s4, s2, 4
	v_add_nc_u64_e32 v[6:7], s[10:11], v[6:7]
	s_delay_alu instid0(VALU_DEP_1)
	v_add_nc_u64_e32 v[6:7], 16, v[6:7]
.LBB10_6:                               ; =>This Inner Loop Header: Depth=1
	global_load_b128 v[10:13], v[6:7], off
	ds_load_2addr_b64 v[14:17], v8 offset1:1
	v_add_nc_u64_e32 v[4:5], s[2:3], v[4:5]
	v_add_nc_u32_e32 v8, s4, v8
	s_delay_alu instid0(VALU_DEP_2) | instskip(SKIP_4) | instid1(VALU_DEP_2)
	v_cmp_le_i64_e32 vcc_lo, s[6:7], v[4:5]
	s_or_b32 s5, vcc_lo, s5
	s_wait_dscnt 0x0
	v_mul_f64_e32 v[18:19], v[16:17], v[2:3]
	v_mul_f64_e32 v[20:21], v[14:15], v[2:3]
	v_fma_f64 v[14:15], v[14:15], v[0:1], -v[18:19]
	s_delay_alu instid0(VALU_DEP_2) | instskip(SKIP_1) | instid1(VALU_DEP_2)
	v_fmac_f64_e32 v[20:21], v[16:17], v[0:1]
	s_wait_loadcnt 0x0
	v_add_f64_e64 v[10:11], v[10:11], -v[14:15]
	s_delay_alu instid0(VALU_DEP_2)
	v_add_f64_e64 v[12:13], v[12:13], -v[20:21]
	global_store_b128 v[6:7], v[10:13], off
	s_wait_xcnt 0x0
	v_add_nc_u64_e32 v[6:7], s[0:1], v[6:7]
	s_and_not1_b32 exec_lo, exec_lo, s5
	s_cbranch_execnz .LBB10_6
.LBB10_7:
	s_endpgm
	.section	.rodata,"a",@progbits
	.p2align	6, 0x0
	.amdhsa_kernel _ZN9rocsolver6v33100L25getf2_scale_update_kernelI19rocblas_complex_numIdElPS3_EEvT0_S5_PT_T1_lS5_l
		.amdhsa_group_segment_fixed_size 0
		.amdhsa_private_segment_fixed_size 0
		.amdhsa_kernarg_size 312
		.amdhsa_user_sgpr_count 2
		.amdhsa_user_sgpr_dispatch_ptr 0
		.amdhsa_user_sgpr_queue_ptr 0
		.amdhsa_user_sgpr_kernarg_segment_ptr 1
		.amdhsa_user_sgpr_dispatch_id 0
		.amdhsa_user_sgpr_kernarg_preload_length 0
		.amdhsa_user_sgpr_kernarg_preload_offset 0
		.amdhsa_user_sgpr_private_segment_size 0
		.amdhsa_wavefront_size32 1
		.amdhsa_uses_dynamic_stack 0
		.amdhsa_enable_private_segment 0
		.amdhsa_system_sgpr_workgroup_id_x 1
		.amdhsa_system_sgpr_workgroup_id_y 0
		.amdhsa_system_sgpr_workgroup_id_z 1
		.amdhsa_system_sgpr_workgroup_info 0
		.amdhsa_system_vgpr_workitem_id 1
		.amdhsa_next_free_vgpr 22
		.amdhsa_next_free_sgpr 24
		.amdhsa_named_barrier_count 0
		.amdhsa_reserve_vcc 1
		.amdhsa_float_round_mode_32 0
		.amdhsa_float_round_mode_16_64 0
		.amdhsa_float_denorm_mode_32 3
		.amdhsa_float_denorm_mode_16_64 3
		.amdhsa_fp16_overflow 0
		.amdhsa_memory_ordered 1
		.amdhsa_forward_progress 1
		.amdhsa_inst_pref_size 6
		.amdhsa_round_robin_scheduling 0
		.amdhsa_exception_fp_ieee_invalid_op 0
		.amdhsa_exception_fp_denorm_src 0
		.amdhsa_exception_fp_ieee_div_zero 0
		.amdhsa_exception_fp_ieee_overflow 0
		.amdhsa_exception_fp_ieee_underflow 0
		.amdhsa_exception_fp_ieee_inexact 0
		.amdhsa_exception_int_div_zero 0
	.end_amdhsa_kernel
	.section	.text._ZN9rocsolver6v33100L25getf2_scale_update_kernelI19rocblas_complex_numIdElPS3_EEvT0_S5_PT_T1_lS5_l,"axG",@progbits,_ZN9rocsolver6v33100L25getf2_scale_update_kernelI19rocblas_complex_numIdElPS3_EEvT0_S5_PT_T1_lS5_l,comdat
.Lfunc_end10:
	.size	_ZN9rocsolver6v33100L25getf2_scale_update_kernelI19rocblas_complex_numIdElPS3_EEvT0_S5_PT_T1_lS5_l, .Lfunc_end10-_ZN9rocsolver6v33100L25getf2_scale_update_kernelI19rocblas_complex_numIdElPS3_EEvT0_S5_PT_T1_lS5_l
                                        ; -- End function
	.set _ZN9rocsolver6v33100L25getf2_scale_update_kernelI19rocblas_complex_numIdElPS3_EEvT0_S5_PT_T1_lS5_l.num_vgpr, 22
	.set _ZN9rocsolver6v33100L25getf2_scale_update_kernelI19rocblas_complex_numIdElPS3_EEvT0_S5_PT_T1_lS5_l.num_agpr, 0
	.set _ZN9rocsolver6v33100L25getf2_scale_update_kernelI19rocblas_complex_numIdElPS3_EEvT0_S5_PT_T1_lS5_l.numbered_sgpr, 24
	.set _ZN9rocsolver6v33100L25getf2_scale_update_kernelI19rocblas_complex_numIdElPS3_EEvT0_S5_PT_T1_lS5_l.num_named_barrier, 0
	.set _ZN9rocsolver6v33100L25getf2_scale_update_kernelI19rocblas_complex_numIdElPS3_EEvT0_S5_PT_T1_lS5_l.private_seg_size, 0
	.set _ZN9rocsolver6v33100L25getf2_scale_update_kernelI19rocblas_complex_numIdElPS3_EEvT0_S5_PT_T1_lS5_l.uses_vcc, 1
	.set _ZN9rocsolver6v33100L25getf2_scale_update_kernelI19rocblas_complex_numIdElPS3_EEvT0_S5_PT_T1_lS5_l.uses_flat_scratch, 0
	.set _ZN9rocsolver6v33100L25getf2_scale_update_kernelI19rocblas_complex_numIdElPS3_EEvT0_S5_PT_T1_lS5_l.has_dyn_sized_stack, 0
	.set _ZN9rocsolver6v33100L25getf2_scale_update_kernelI19rocblas_complex_numIdElPS3_EEvT0_S5_PT_T1_lS5_l.has_recursion, 0
	.set _ZN9rocsolver6v33100L25getf2_scale_update_kernelI19rocblas_complex_numIdElPS3_EEvT0_S5_PT_T1_lS5_l.has_indirect_call, 0
	.section	.AMDGPU.csdata,"",@progbits
; Kernel info:
; codeLenInByte = 668
; TotalNumSgprs: 26
; NumVgprs: 22
; ScratchSize: 0
; MemoryBound: 0
; FloatMode: 240
; IeeeMode: 1
; LDSByteSize: 0 bytes/workgroup (compile time only)
; SGPRBlocks: 0
; VGPRBlocks: 1
; NumSGPRsForWavesPerEU: 26
; NumVGPRsForWavesPerEU: 22
; NamedBarCnt: 0
; Occupancy: 16
; WaveLimiterHint : 0
; COMPUTE_PGM_RSRC2:SCRATCH_EN: 0
; COMPUTE_PGM_RSRC2:USER_SGPR: 2
; COMPUTE_PGM_RSRC2:TRAP_HANDLER: 0
; COMPUTE_PGM_RSRC2:TGID_X_EN: 1
; COMPUTE_PGM_RSRC2:TGID_Y_EN: 0
; COMPUTE_PGM_RSRC2:TGID_Z_EN: 1
; COMPUTE_PGM_RSRC2:TIDIG_COMP_CNT: 1
	.section	.text._ZN9rocsolver6v33100L25getf2_scale_update_kernelI19rocblas_complex_numIdElPKPS3_EEvT0_S7_PT_T1_lS7_l,"axG",@progbits,_ZN9rocsolver6v33100L25getf2_scale_update_kernelI19rocblas_complex_numIdElPKPS3_EEvT0_S7_PT_T1_lS7_l,comdat
	.globl	_ZN9rocsolver6v33100L25getf2_scale_update_kernelI19rocblas_complex_numIdElPKPS3_EEvT0_S7_PT_T1_lS7_l ; -- Begin function _ZN9rocsolver6v33100L25getf2_scale_update_kernelI19rocblas_complex_numIdElPKPS3_EEvT0_S7_PT_T1_lS7_l
	.p2align	8
	.type	_ZN9rocsolver6v33100L25getf2_scale_update_kernelI19rocblas_complex_numIdElPKPS3_EEvT0_S7_PT_T1_lS7_l,@function
_ZN9rocsolver6v33100L25getf2_scale_update_kernelI19rocblas_complex_numIdElPKPS3_EEvT0_S7_PT_T1_lS7_l: ; @_ZN9rocsolver6v33100L25getf2_scale_update_kernelI19rocblas_complex_numIdElPKPS3_EEvT0_S7_PT_T1_lS7_l
; %bb.0:
	s_clause 0x1
	s_load_b32 s2, s[0:1], 0x44
	s_load_b256 s[4:11], s[0:1], 0x0
	s_bfe_u32 s3, ttmp6, 0x40014
	s_lshr_b32 s13, ttmp7, 16
	s_add_co_i32 s3, s3, 1
	s_bfe_u32 s14, ttmp6, 0x40008
	s_mul_i32 s3, s13, s3
	s_getreg_b32 s19, hwreg(HW_REG_IB_STS2, 6, 4)
	s_add_co_i32 s14, s14, s3
	v_and_b32_e32 v4, 0x3ff, v0
	v_bfe_u32 v0, v0, 10, 10
	v_mov_b32_e32 v1, 0
	s_delay_alu instid0(VALU_DEP_1)
	v_mov_b32_e32 v3, v1
	s_wait_kmcnt 0x0
	s_lshr_b32 s12, s2, 16
	s_and_b32 s18, s2, 0xffff
	s_cmp_eq_u32 s19, 0
	s_load_b128 s[0:3], s[0:1], 0x20
	s_cselect_b32 s13, s13, s14
	v_mad_u32_u24 v2, v4, s12, v0
	s_load_b64 s[10:11], s[10:11], s13 offset:0x0 scale_offset
	s_wait_kmcnt 0x0
	s_lshl_b64 s[14:15], s[0:1], 4
	s_mov_b32 s0, exec_lo
	s_add_nc_u64 s[16:17], s[10:11], s[14:15]
	v_cmpx_gt_i64_e64 s[6:7], v[2:3]
	s_cbranch_execz .LBB11_2
; %bb.1:
	v_mul_u64_e32 v[6:7], s[2:3], v[2:3]
	s_lshl_b64 s[20:21], s[2:3], 4
	v_lshlrev_b32_e32 v2, 4, v2
	s_add_nc_u64 s[20:21], s[16:17], s[20:21]
	s_lshl_b32 s1, s18, 4
	s_delay_alu instid0(VALU_DEP_1) | instid1(SALU_CYCLE_1)
	v_add3_u32 v2, 0, s1, v2
	s_delay_alu instid0(VALU_DEP_3)
	v_lshl_add_u64 v[6:7], v[6:7], 4, s[20:21]
	flat_load_b128 v[6:9], v[6:7]
	s_wait_loadcnt_dscnt 0x0
	ds_store_2addr_b64 v2, v[6:7], v[8:9] offset1:1
.LBB11_2:
	s_or_b32 exec_lo, exec_lo, s0
	s_bfe_u32 s0, ttmp6, 0x4000c
	s_and_b32 s1, ttmp6, 15
	s_add_co_i32 s0, s0, 1
	v_mov_b32_e32 v5, v1
	s_mul_i32 s0, ttmp9, s0
	s_delay_alu instid0(SALU_CYCLE_1) | instskip(SKIP_2) | instid1(SALU_CYCLE_1)
	s_add_co_i32 s1, s1, s0
	s_cmp_eq_u32 s19, 0
	s_cselect_b32 s0, ttmp9, s1
	v_mad_nc_u64_u32 v[2:3], s18, s0, v[4:5]
	v_cmp_eq_u32_e64 s0, 0, v0
	v_lshl_add_u32 v4, v4, 4, 0
	s_delay_alu instid0(VALU_DEP_3) | instskip(SKIP_1) | instid1(SALU_CYCLE_1)
	v_cmp_gt_i64_e32 vcc_lo, s[4:5], v[2:3]
	s_and_b32 s1, s0, vcc_lo
	s_and_saveexec_b32 s0, s1
	s_cbranch_execz .LBB11_4
; %bb.3:
	v_lshl_add_u64 v[12:13], v[2:3], 4, s[16:17]
	s_load_b128 s[20:23], s[8:9], s13 offset:0x0 scale_offset
	flat_load_b128 v[6:9], v[12:13] offset:16
	s_wait_loadcnt_dscnt 0x0
	s_wait_kmcnt 0x0
	v_mul_f64_e32 v[14:15], s[22:23], v[8:9]
	v_mul_f64_e32 v[10:11], s[20:21], v[8:9]
	s_delay_alu instid0(VALU_DEP_2) | instskip(NEXT) | instid1(VALU_DEP_2)
	v_fma_f64 v[8:9], s[20:21], v[6:7], -v[14:15]
	v_fmac_f64_e32 v[10:11], s[22:23], v[6:7]
	ds_store_2addr_b64 v4, v[8:9], v[10:11] offset1:1
	flat_store_b128 v[12:13], v[8:11] offset:16
.LBB11_4:
	s_wait_xcnt 0x0
	s_or_b32 exec_lo, exec_lo, s0
	v_cmp_gt_i64_e64 s0, s[6:7], v[0:1]
	s_wait_storecnt_dscnt 0x0
	s_barrier_signal -1
	s_barrier_wait -1
	s_and_b32 s0, vcc_lo, s0
	s_delay_alu instid0(SALU_CYCLE_1)
	s_and_saveexec_b32 s1, s0
	s_cbranch_execz .LBB11_7
; %bb.5:
	v_lshlrev_b32_e32 v5, 4, v0
	s_lshl_b32 s4, s18, 4
	s_mov_b32 s13, 0
	s_delay_alu instid0(SALU_CYCLE_1) | instskip(NEXT) | instid1(VALU_DEP_1)
	s_mul_u64 s[0:1], s[2:3], s[12:13]
	v_add_nc_u32_e32 v8, 16, v5
	v_add3_u32 v5, 0, s4, v5
	s_lshl_b64 s[0:1], s[0:1], 4
	s_delay_alu instid0(VALU_DEP_2) | instskip(SKIP_1) | instid1(VALU_DEP_1)
	v_mad_nc_u64_u32 v[6:7], s2, v8, s[14:15]
	s_lshl_b32 s2, s12, 4
	v_mad_u32 v7, s3, v8, v7
	s_mov_b32 s3, s13
	s_delay_alu instid0(VALU_DEP_1) | instskip(NEXT) | instid1(VALU_DEP_1)
	v_lshl_add_u64 v[2:3], v[2:3], 4, v[6:7]
	v_add_nc_u64_e32 v[2:3], s[10:11], v[2:3]
	s_delay_alu instid0(VALU_DEP_1)
	v_add_nc_u64_e32 v[2:3], 16, v[2:3]
.LBB11_6:                               ; =>This Inner Loop Header: Depth=1
	flat_load_b128 v[6:9], v[2:3]
	ds_load_2addr_b64 v[10:13], v5 offset1:1
	ds_load_2addr_b64 v[14:17], v4 offset1:1
	v_add_nc_u64_e32 v[0:1], s[12:13], v[0:1]
	v_add_nc_u32_e32 v5, s2, v5
	s_delay_alu instid0(VALU_DEP_2) | instskip(SKIP_4) | instid1(VALU_DEP_2)
	v_cmp_le_i64_e32 vcc_lo, s[6:7], v[0:1]
	s_or_b32 s3, vcc_lo, s3
	s_wait_dscnt 0x0
	v_mul_f64_e32 v[18:19], v[12:13], v[16:17]
	v_mul_f64_e32 v[16:17], v[10:11], v[16:17]
	v_fma_f64 v[10:11], v[10:11], v[14:15], -v[18:19]
	s_delay_alu instid0(VALU_DEP_2) | instskip(SKIP_1) | instid1(VALU_DEP_2)
	v_fmac_f64_e32 v[16:17], v[12:13], v[14:15]
	s_wait_loadcnt 0x0
	v_add_f64_e64 v[6:7], v[6:7], -v[10:11]
	s_delay_alu instid0(VALU_DEP_2)
	v_add_f64_e64 v[8:9], v[8:9], -v[16:17]
	flat_store_b128 v[2:3], v[6:9]
	s_wait_xcnt 0x0
	v_add_nc_u64_e32 v[2:3], s[0:1], v[2:3]
	s_and_not1_b32 exec_lo, exec_lo, s3
	s_cbranch_execnz .LBB11_6
.LBB11_7:
	s_endpgm
	.section	.rodata,"a",@progbits
	.p2align	6, 0x0
	.amdhsa_kernel _ZN9rocsolver6v33100L25getf2_scale_update_kernelI19rocblas_complex_numIdElPKPS3_EEvT0_S7_PT_T1_lS7_l
		.amdhsa_group_segment_fixed_size 0
		.amdhsa_private_segment_fixed_size 0
		.amdhsa_kernarg_size 312
		.amdhsa_user_sgpr_count 2
		.amdhsa_user_sgpr_dispatch_ptr 0
		.amdhsa_user_sgpr_queue_ptr 0
		.amdhsa_user_sgpr_kernarg_segment_ptr 1
		.amdhsa_user_sgpr_dispatch_id 0
		.amdhsa_user_sgpr_kernarg_preload_length 0
		.amdhsa_user_sgpr_kernarg_preload_offset 0
		.amdhsa_user_sgpr_private_segment_size 0
		.amdhsa_wavefront_size32 1
		.amdhsa_uses_dynamic_stack 0
		.amdhsa_enable_private_segment 0
		.amdhsa_system_sgpr_workgroup_id_x 1
		.amdhsa_system_sgpr_workgroup_id_y 0
		.amdhsa_system_sgpr_workgroup_id_z 1
		.amdhsa_system_sgpr_workgroup_info 0
		.amdhsa_system_vgpr_workitem_id 1
		.amdhsa_next_free_vgpr 20
		.amdhsa_next_free_sgpr 24
		.amdhsa_named_barrier_count 0
		.amdhsa_reserve_vcc 1
		.amdhsa_float_round_mode_32 0
		.amdhsa_float_round_mode_16_64 0
		.amdhsa_float_denorm_mode_32 3
		.amdhsa_float_denorm_mode_16_64 3
		.amdhsa_fp16_overflow 0
		.amdhsa_memory_ordered 1
		.amdhsa_forward_progress 1
		.amdhsa_inst_pref_size 6
		.amdhsa_round_robin_scheduling 0
		.amdhsa_exception_fp_ieee_invalid_op 0
		.amdhsa_exception_fp_denorm_src 0
		.amdhsa_exception_fp_ieee_div_zero 0
		.amdhsa_exception_fp_ieee_overflow 0
		.amdhsa_exception_fp_ieee_underflow 0
		.amdhsa_exception_fp_ieee_inexact 0
		.amdhsa_exception_int_div_zero 0
	.end_amdhsa_kernel
	.section	.text._ZN9rocsolver6v33100L25getf2_scale_update_kernelI19rocblas_complex_numIdElPKPS3_EEvT0_S7_PT_T1_lS7_l,"axG",@progbits,_ZN9rocsolver6v33100L25getf2_scale_update_kernelI19rocblas_complex_numIdElPKPS3_EEvT0_S7_PT_T1_lS7_l,comdat
.Lfunc_end11:
	.size	_ZN9rocsolver6v33100L25getf2_scale_update_kernelI19rocblas_complex_numIdElPKPS3_EEvT0_S7_PT_T1_lS7_l, .Lfunc_end11-_ZN9rocsolver6v33100L25getf2_scale_update_kernelI19rocblas_complex_numIdElPKPS3_EEvT0_S7_PT_T1_lS7_l
                                        ; -- End function
	.set _ZN9rocsolver6v33100L25getf2_scale_update_kernelI19rocblas_complex_numIdElPKPS3_EEvT0_S7_PT_T1_lS7_l.num_vgpr, 20
	.set _ZN9rocsolver6v33100L25getf2_scale_update_kernelI19rocblas_complex_numIdElPKPS3_EEvT0_S7_PT_T1_lS7_l.num_agpr, 0
	.set _ZN9rocsolver6v33100L25getf2_scale_update_kernelI19rocblas_complex_numIdElPKPS3_EEvT0_S7_PT_T1_lS7_l.numbered_sgpr, 24
	.set _ZN9rocsolver6v33100L25getf2_scale_update_kernelI19rocblas_complex_numIdElPKPS3_EEvT0_S7_PT_T1_lS7_l.num_named_barrier, 0
	.set _ZN9rocsolver6v33100L25getf2_scale_update_kernelI19rocblas_complex_numIdElPKPS3_EEvT0_S7_PT_T1_lS7_l.private_seg_size, 0
	.set _ZN9rocsolver6v33100L25getf2_scale_update_kernelI19rocblas_complex_numIdElPKPS3_EEvT0_S7_PT_T1_lS7_l.uses_vcc, 1
	.set _ZN9rocsolver6v33100L25getf2_scale_update_kernelI19rocblas_complex_numIdElPKPS3_EEvT0_S7_PT_T1_lS7_l.uses_flat_scratch, 0
	.set _ZN9rocsolver6v33100L25getf2_scale_update_kernelI19rocblas_complex_numIdElPKPS3_EEvT0_S7_PT_T1_lS7_l.has_dyn_sized_stack, 0
	.set _ZN9rocsolver6v33100L25getf2_scale_update_kernelI19rocblas_complex_numIdElPKPS3_EEvT0_S7_PT_T1_lS7_l.has_recursion, 0
	.set _ZN9rocsolver6v33100L25getf2_scale_update_kernelI19rocblas_complex_numIdElPKPS3_EEvT0_S7_PT_T1_lS7_l.has_indirect_call, 0
	.section	.AMDGPU.csdata,"",@progbits
; Kernel info:
; codeLenInByte = 660
; TotalNumSgprs: 26
; NumVgprs: 20
; ScratchSize: 0
; MemoryBound: 0
; FloatMode: 240
; IeeeMode: 1
; LDSByteSize: 0 bytes/workgroup (compile time only)
; SGPRBlocks: 0
; VGPRBlocks: 1
; NumSGPRsForWavesPerEU: 26
; NumVGPRsForWavesPerEU: 20
; NamedBarCnt: 0
; Occupancy: 16
; WaveLimiterHint : 1
; COMPUTE_PGM_RSRC2:SCRATCH_EN: 0
; COMPUTE_PGM_RSRC2:USER_SGPR: 2
; COMPUTE_PGM_RSRC2:TRAP_HANDLER: 0
; COMPUTE_PGM_RSRC2:TGID_X_EN: 1
; COMPUTE_PGM_RSRC2:TGID_Y_EN: 0
; COMPUTE_PGM_RSRC2:TGID_Z_EN: 1
; COMPUTE_PGM_RSRC2:TIDIG_COMP_CNT: 1
	.section	.AMDGPU.gpr_maximums,"",@progbits
	.set amdgpu.max_num_vgpr, 0
	.set amdgpu.max_num_agpr, 0
	.set amdgpu.max_num_sgpr, 0
	.section	.AMDGPU.csdata,"",@progbits
	.type	__hip_cuid_3774f0eb1a99333d,@object ; @__hip_cuid_3774f0eb1a99333d
	.section	.bss,"aw",@nobits
	.globl	__hip_cuid_3774f0eb1a99333d
__hip_cuid_3774f0eb1a99333d:
	.byte	0                               ; 0x0
	.size	__hip_cuid_3774f0eb1a99333d, 1

	.ident	"AMD clang version 22.0.0git (https://github.com/RadeonOpenCompute/llvm-project roc-7.2.4 26084 f58b06dce1f9c15707c5f808fd002e18c2accf7e)"
	.section	".note.GNU-stack","",@progbits
	.addrsig
	.addrsig_sym __hip_cuid_3774f0eb1a99333d
	.amdgpu_metadata
---
amdhsa.kernels:
  - .args:
      - .offset:         0
        .size:           4
        .value_kind:     by_value
      - .offset:         4
        .size:           4
        .value_kind:     by_value
      - .address_space:  global
        .offset:         8
        .size:           8
        .value_kind:     global_buffer
      - .offset:         16
        .size:           8
        .value_kind:     by_value
      - .offset:         24
        .size:           4
        .value_kind:     by_value
      - .offset:         32
        .size:           8
        .value_kind:     by_value
      - .address_space:  global
        .offset:         40
        .size:           8
        .value_kind:     global_buffer
      - .offset:         48
        .size:           8
        .value_kind:     by_value
      - .offset:         56
        .size:           8
        .value_kind:     by_value
      - .address_space:  global
        .offset:         64
        .size:           8
        .value_kind:     global_buffer
      - .offset:         72
        .size:           4
        .value_kind:     by_value
      - .offset:         76
        .size:           4
        .value_kind:     by_value
      - .address_space:  global
        .offset:         80
        .size:           8
        .value_kind:     global_buffer
      - .offset:         88
        .size:           8
        .value_kind:     by_value
      - .offset:         96
        .size:           4
        .value_kind:     hidden_block_count_x
      - .offset:         100
        .size:           4
        .value_kind:     hidden_block_count_y
      - .offset:         104
        .size:           4
        .value_kind:     hidden_block_count_z
      - .offset:         108
        .size:           2
        .value_kind:     hidden_group_size_x
      - .offset:         110
        .size:           2
        .value_kind:     hidden_group_size_y
      - .offset:         112
        .size:           2
        .value_kind:     hidden_group_size_z
      - .offset:         114
        .size:           2
        .value_kind:     hidden_remainder_x
      - .offset:         116
        .size:           2
        .value_kind:     hidden_remainder_y
      - .offset:         118
        .size:           2
        .value_kind:     hidden_remainder_z
      - .offset:         136
        .size:           8
        .value_kind:     hidden_global_offset_x
      - .offset:         144
        .size:           8
        .value_kind:     hidden_global_offset_y
      - .offset:         152
        .size:           8
        .value_kind:     hidden_global_offset_z
      - .offset:         160
        .size:           2
        .value_kind:     hidden_grid_dims
      - .offset:         216
        .size:           4
        .value_kind:     hidden_dynamic_lds_size
    .group_segment_fixed_size: 16
    .kernarg_segment_align: 8
    .kernarg_segment_size: 352
    .language:       OpenCL C
    .language_version:
      - 2
      - 0
    .max_flat_workgroup_size: 1024
    .name:           _ZN9rocsolver6v33100L18getf2_panel_kernelI19rocblas_complex_numIdEiiPS3_EEvT0_S5_T2_lS5_lPS5_llPT1_S5_S5_S7_l
    .private_segment_fixed_size: 0
    .sgpr_count:     38
    .sgpr_spill_count: 0
    .symbol:         _ZN9rocsolver6v33100L18getf2_panel_kernelI19rocblas_complex_numIdEiiPS3_EEvT0_S5_T2_lS5_lPS5_llPT1_S5_S5_S7_l.kd
    .uniform_work_group_size: 1
    .uses_dynamic_stack: false
    .vgpr_count:     42
    .vgpr_spill_count: 0
    .wavefront_size: 32
  - .args:
      - .offset:         0
        .size:           4
        .value_kind:     by_value
      - .offset:         4
        .size:           4
        .value_kind:     by_value
      - .address_space:  global
        .offset:         8
        .size:           8
        .value_kind:     global_buffer
      - .offset:         16
        .size:           8
        .value_kind:     by_value
      - .offset:         24
        .size:           4
        .value_kind:     by_value
      - .offset:         32
        .size:           8
        .value_kind:     by_value
      - .address_space:  global
        .offset:         40
        .size:           8
        .value_kind:     global_buffer
      - .offset:         48
        .size:           4
        .value_kind:     by_value
      - .offset:         52
        .size:           4
        .value_kind:     by_value
      - .offset:         56
        .size:           4
        .value_kind:     hidden_block_count_x
      - .offset:         60
        .size:           4
        .value_kind:     hidden_block_count_y
      - .offset:         64
        .size:           4
        .value_kind:     hidden_block_count_z
      - .offset:         68
        .size:           2
        .value_kind:     hidden_group_size_x
      - .offset:         70
        .size:           2
        .value_kind:     hidden_group_size_y
      - .offset:         72
        .size:           2
        .value_kind:     hidden_group_size_z
      - .offset:         74
        .size:           2
        .value_kind:     hidden_remainder_x
      - .offset:         76
        .size:           2
        .value_kind:     hidden_remainder_y
      - .offset:         78
        .size:           2
        .value_kind:     hidden_remainder_z
      - .offset:         96
        .size:           8
        .value_kind:     hidden_global_offset_x
      - .offset:         104
        .size:           8
        .value_kind:     hidden_global_offset_y
      - .offset:         112
        .size:           8
        .value_kind:     hidden_global_offset_z
      - .offset:         120
        .size:           2
        .value_kind:     hidden_grid_dims
      - .offset:         176
        .size:           4
        .value_kind:     hidden_dynamic_lds_size
    .group_segment_fixed_size: 0
    .kernarg_segment_align: 8
    .kernarg_segment_size: 312
    .language:       OpenCL C
    .language_version:
      - 2
      - 0
    .max_flat_workgroup_size: 1024
    .name:           _ZN9rocsolver6v33100L23getf2_npvt_panel_kernelI19rocblas_complex_numIdEiiPS3_EEvT0_S5_T2_lS5_lPT1_S5_S5_
    .private_segment_fixed_size: 0
    .sgpr_count:     26
    .sgpr_spill_count: 0
    .symbol:         _ZN9rocsolver6v33100L23getf2_npvt_panel_kernelI19rocblas_complex_numIdEiiPS3_EEvT0_S5_T2_lS5_lPT1_S5_S5_.kd
    .uniform_work_group_size: 1
    .uses_dynamic_stack: false
    .vgpr_count:     26
    .vgpr_spill_count: 0
    .wavefront_size: 32
  - .args:
      - .offset:         0
        .size:           4
        .value_kind:     by_value
      - .offset:         4
        .size:           4
        .value_kind:     by_value
      - .address_space:  global
        .offset:         8
        .size:           8
        .value_kind:     global_buffer
      - .offset:         16
        .size:           8
        .value_kind:     by_value
      - .offset:         24
        .size:           4
        .value_kind:     by_value
      - .offset:         32
        .size:           8
        .value_kind:     by_value
      - .address_space:  global
        .offset:         40
        .size:           8
        .value_kind:     global_buffer
      - .offset:         48
        .size:           8
        .value_kind:     by_value
      - .offset:         56
        .size:           8
        .value_kind:     by_value
      - .address_space:  global
        .offset:         64
        .size:           8
        .value_kind:     global_buffer
      - .offset:         72
        .size:           4
        .value_kind:     by_value
      - .offset:         76
        .size:           4
        .value_kind:     by_value
      - .address_space:  global
        .offset:         80
        .size:           8
        .value_kind:     global_buffer
      - .offset:         88
        .size:           8
        .value_kind:     by_value
      - .offset:         96
        .size:           4
        .value_kind:     hidden_block_count_x
      - .offset:         100
        .size:           4
        .value_kind:     hidden_block_count_y
      - .offset:         104
        .size:           4
        .value_kind:     hidden_block_count_z
      - .offset:         108
        .size:           2
        .value_kind:     hidden_group_size_x
      - .offset:         110
        .size:           2
        .value_kind:     hidden_group_size_y
      - .offset:         112
        .size:           2
        .value_kind:     hidden_group_size_z
      - .offset:         114
        .size:           2
        .value_kind:     hidden_remainder_x
      - .offset:         116
        .size:           2
        .value_kind:     hidden_remainder_y
      - .offset:         118
        .size:           2
        .value_kind:     hidden_remainder_z
      - .offset:         136
        .size:           8
        .value_kind:     hidden_global_offset_x
      - .offset:         144
        .size:           8
        .value_kind:     hidden_global_offset_y
      - .offset:         152
        .size:           8
        .value_kind:     hidden_global_offset_z
      - .offset:         160
        .size:           2
        .value_kind:     hidden_grid_dims
      - .offset:         216
        .size:           4
        .value_kind:     hidden_dynamic_lds_size
    .group_segment_fixed_size: 16
    .kernarg_segment_align: 8
    .kernarg_segment_size: 352
    .language:       OpenCL C
    .language_version:
      - 2
      - 0
    .max_flat_workgroup_size: 1024
    .name:           _ZN9rocsolver6v33100L18getf2_panel_kernelI19rocblas_complex_numIdEiiPKPS3_EEvT0_S7_T2_lS7_lPS7_llPT1_S7_S7_S9_l
    .private_segment_fixed_size: 0
    .sgpr_count:     38
    .sgpr_spill_count: 0
    .symbol:         _ZN9rocsolver6v33100L18getf2_panel_kernelI19rocblas_complex_numIdEiiPKPS3_EEvT0_S7_T2_lS7_lPS7_llPT1_S7_S7_S9_l.kd
    .uniform_work_group_size: 1
    .uses_dynamic_stack: false
    .vgpr_count:     42
    .vgpr_spill_count: 0
    .wavefront_size: 32
  - .args:
      - .offset:         0
        .size:           4
        .value_kind:     by_value
      - .offset:         4
        .size:           4
        .value_kind:     by_value
      - .address_space:  global
        .offset:         8
        .size:           8
        .value_kind:     global_buffer
      - .offset:         16
        .size:           8
        .value_kind:     by_value
      - .offset:         24
        .size:           4
        .value_kind:     by_value
      - .offset:         32
        .size:           8
        .value_kind:     by_value
      - .address_space:  global
        .offset:         40
        .size:           8
        .value_kind:     global_buffer
      - .offset:         48
        .size:           4
        .value_kind:     by_value
      - .offset:         52
        .size:           4
        .value_kind:     by_value
      - .offset:         56
        .size:           4
        .value_kind:     hidden_block_count_x
      - .offset:         60
        .size:           4
        .value_kind:     hidden_block_count_y
      - .offset:         64
        .size:           4
        .value_kind:     hidden_block_count_z
      - .offset:         68
        .size:           2
        .value_kind:     hidden_group_size_x
      - .offset:         70
        .size:           2
        .value_kind:     hidden_group_size_y
      - .offset:         72
        .size:           2
        .value_kind:     hidden_group_size_z
      - .offset:         74
        .size:           2
        .value_kind:     hidden_remainder_x
      - .offset:         76
        .size:           2
        .value_kind:     hidden_remainder_y
      - .offset:         78
        .size:           2
        .value_kind:     hidden_remainder_z
      - .offset:         96
        .size:           8
        .value_kind:     hidden_global_offset_x
      - .offset:         104
        .size:           8
        .value_kind:     hidden_global_offset_y
      - .offset:         112
        .size:           8
        .value_kind:     hidden_global_offset_z
      - .offset:         120
        .size:           2
        .value_kind:     hidden_grid_dims
      - .offset:         176
        .size:           4
        .value_kind:     hidden_dynamic_lds_size
    .group_segment_fixed_size: 0
    .kernarg_segment_align: 8
    .kernarg_segment_size: 312
    .language:       OpenCL C
    .language_version:
      - 2
      - 0
    .max_flat_workgroup_size: 1024
    .name:           _ZN9rocsolver6v33100L23getf2_npvt_panel_kernelI19rocblas_complex_numIdEiiPKPS3_EEvT0_S7_T2_lS7_lPT1_S7_S7_
    .private_segment_fixed_size: 0
    .sgpr_count:     24
    .sgpr_spill_count: 0
    .symbol:         _ZN9rocsolver6v33100L23getf2_npvt_panel_kernelI19rocblas_complex_numIdEiiPKPS3_EEvT0_S7_T2_lS7_lPT1_S7_S7_.kd
    .uniform_work_group_size: 1
    .uses_dynamic_stack: false
    .vgpr_count:     26
    .vgpr_spill_count: 0
    .wavefront_size: 32
  - .args:
      - .offset:         0
        .size:           4
        .value_kind:     by_value
      - .offset:         4
        .size:           4
        .value_kind:     by_value
      - .address_space:  global
        .offset:         8
        .size:           8
        .value_kind:     global_buffer
      - .address_space:  global
        .offset:         16
        .size:           8
        .value_kind:     global_buffer
      - .offset:         24
        .size:           8
        .value_kind:     by_value
      - .offset:         32
        .size:           4
        .value_kind:     by_value
      - .offset:         40
        .size:           8
        .value_kind:     by_value
      - .offset:         48
        .size:           4
        .value_kind:     hidden_block_count_x
      - .offset:         52
        .size:           4
        .value_kind:     hidden_block_count_y
      - .offset:         56
        .size:           4
        .value_kind:     hidden_block_count_z
      - .offset:         60
        .size:           2
        .value_kind:     hidden_group_size_x
      - .offset:         62
        .size:           2
        .value_kind:     hidden_group_size_y
      - .offset:         64
        .size:           2
        .value_kind:     hidden_group_size_z
      - .offset:         66
        .size:           2
        .value_kind:     hidden_remainder_x
      - .offset:         68
        .size:           2
        .value_kind:     hidden_remainder_y
      - .offset:         70
        .size:           2
        .value_kind:     hidden_remainder_z
      - .offset:         88
        .size:           8
        .value_kind:     hidden_global_offset_x
      - .offset:         96
        .size:           8
        .value_kind:     hidden_global_offset_y
      - .offset:         104
        .size:           8
        .value_kind:     hidden_global_offset_z
      - .offset:         112
        .size:           2
        .value_kind:     hidden_grid_dims
      - .offset:         168
        .size:           4
        .value_kind:     hidden_dynamic_lds_size
    .group_segment_fixed_size: 0
    .kernarg_segment_align: 8
    .kernarg_segment_size: 304
    .language:       OpenCL C
    .language_version:
      - 2
      - 0
    .max_flat_workgroup_size: 1024
    .name:           _ZN9rocsolver6v33100L25getf2_scale_update_kernelI19rocblas_complex_numIdEiPS3_EEvT0_S5_PT_T1_lS5_l
    .private_segment_fixed_size: 0
    .sgpr_count:     22
    .sgpr_spill_count: 0
    .symbol:         _ZN9rocsolver6v33100L25getf2_scale_update_kernelI19rocblas_complex_numIdEiPS3_EEvT0_S5_PT_T1_lS5_l.kd
    .uniform_work_group_size: 1
    .uses_dynamic_stack: false
    .vgpr_count:     20
    .vgpr_spill_count: 0
    .wavefront_size: 32
  - .args:
      - .offset:         0
        .size:           4
        .value_kind:     by_value
      - .offset:         4
        .size:           4
        .value_kind:     by_value
      - .address_space:  global
        .offset:         8
        .size:           8
        .value_kind:     global_buffer
      - .address_space:  global
        .offset:         16
        .size:           8
        .value_kind:     global_buffer
      - .offset:         24
        .size:           8
        .value_kind:     by_value
      - .offset:         32
        .size:           4
        .value_kind:     by_value
      - .offset:         40
        .size:           8
        .value_kind:     by_value
      - .offset:         48
        .size:           4
        .value_kind:     hidden_block_count_x
      - .offset:         52
        .size:           4
        .value_kind:     hidden_block_count_y
      - .offset:         56
        .size:           4
        .value_kind:     hidden_block_count_z
      - .offset:         60
        .size:           2
        .value_kind:     hidden_group_size_x
      - .offset:         62
        .size:           2
        .value_kind:     hidden_group_size_y
      - .offset:         64
        .size:           2
        .value_kind:     hidden_group_size_z
      - .offset:         66
        .size:           2
        .value_kind:     hidden_remainder_x
      - .offset:         68
        .size:           2
        .value_kind:     hidden_remainder_y
      - .offset:         70
        .size:           2
        .value_kind:     hidden_remainder_z
      - .offset:         88
        .size:           8
        .value_kind:     hidden_global_offset_x
      - .offset:         96
        .size:           8
        .value_kind:     hidden_global_offset_y
      - .offset:         104
        .size:           8
        .value_kind:     hidden_global_offset_z
      - .offset:         112
        .size:           2
        .value_kind:     hidden_grid_dims
      - .offset:         168
        .size:           4
        .value_kind:     hidden_dynamic_lds_size
    .group_segment_fixed_size: 0
    .kernarg_segment_align: 8
    .kernarg_segment_size: 304
    .language:       OpenCL C
    .language_version:
      - 2
      - 0
    .max_flat_workgroup_size: 1024
    .name:           _ZN9rocsolver6v33100L25getf2_scale_update_kernelI19rocblas_complex_numIdEiPKPS3_EEvT0_S7_PT_T1_lS7_l
    .private_segment_fixed_size: 0
    .sgpr_count:     22
    .sgpr_spill_count: 0
    .symbol:         _ZN9rocsolver6v33100L25getf2_scale_update_kernelI19rocblas_complex_numIdEiPKPS3_EEvT0_S7_PT_T1_lS7_l.kd
    .uniform_work_group_size: 1
    .uses_dynamic_stack: false
    .vgpr_count:     18
    .vgpr_spill_count: 0
    .wavefront_size: 32
  - .args:
      - .offset:         0
        .size:           8
        .value_kind:     by_value
      - .offset:         8
        .size:           8
        .value_kind:     by_value
      - .address_space:  global
        .offset:         16
        .size:           8
        .value_kind:     global_buffer
      - .offset:         24
        .size:           8
        .value_kind:     by_value
      - .offset:         32
        .size:           8
        .value_kind:     by_value
      - .offset:         40
        .size:           8
        .value_kind:     by_value
      - .address_space:  global
        .offset:         48
        .size:           8
        .value_kind:     global_buffer
      - .offset:         56
        .size:           8
        .value_kind:     by_value
      - .offset:         64
        .size:           8
        .value_kind:     by_value
      - .address_space:  global
        .offset:         72
        .size:           8
        .value_kind:     global_buffer
      - .offset:         80
        .size:           8
        .value_kind:     by_value
      - .offset:         88
        .size:           8
        .value_kind:     by_value
      - .address_space:  global
        .offset:         96
        .size:           8
        .value_kind:     global_buffer
      - .offset:         104
        .size:           8
        .value_kind:     by_value
      - .offset:         112
        .size:           4
        .value_kind:     hidden_block_count_x
      - .offset:         116
        .size:           4
        .value_kind:     hidden_block_count_y
      - .offset:         120
        .size:           4
        .value_kind:     hidden_block_count_z
      - .offset:         124
        .size:           2
        .value_kind:     hidden_group_size_x
      - .offset:         126
        .size:           2
        .value_kind:     hidden_group_size_y
      - .offset:         128
        .size:           2
        .value_kind:     hidden_group_size_z
      - .offset:         130
        .size:           2
        .value_kind:     hidden_remainder_x
      - .offset:         132
        .size:           2
        .value_kind:     hidden_remainder_y
      - .offset:         134
        .size:           2
        .value_kind:     hidden_remainder_z
      - .offset:         152
        .size:           8
        .value_kind:     hidden_global_offset_x
      - .offset:         160
        .size:           8
        .value_kind:     hidden_global_offset_y
      - .offset:         168
        .size:           8
        .value_kind:     hidden_global_offset_z
      - .offset:         176
        .size:           2
        .value_kind:     hidden_grid_dims
      - .offset:         232
        .size:           4
        .value_kind:     hidden_dynamic_lds_size
    .group_segment_fixed_size: 16
    .kernarg_segment_align: 8
    .kernarg_segment_size: 368
    .language:       OpenCL C
    .language_version:
      - 2
      - 0
    .max_flat_workgroup_size: 1024
    .name:           _ZN9rocsolver6v33100L18getf2_panel_kernelI19rocblas_complex_numIdEllPS3_EEvT0_S5_T2_lS5_lPS5_llPT1_S5_S5_S7_l
    .private_segment_fixed_size: 0
    .sgpr_count:     52
    .sgpr_spill_count: 0
    .symbol:         _ZN9rocsolver6v33100L18getf2_panel_kernelI19rocblas_complex_numIdEllPS3_EEvT0_S5_T2_lS5_lPS5_llPT1_S5_S5_S7_l.kd
    .uniform_work_group_size: 1
    .uses_dynamic_stack: false
    .vgpr_count:     46
    .vgpr_spill_count: 0
    .wavefront_size: 32
  - .args:
      - .offset:         0
        .size:           8
        .value_kind:     by_value
      - .offset:         8
        .size:           8
        .value_kind:     by_value
      - .address_space:  global
        .offset:         16
        .size:           8
        .value_kind:     global_buffer
      - .offset:         24
        .size:           8
        .value_kind:     by_value
      - .offset:         32
        .size:           8
        .value_kind:     by_value
      - .offset:         40
        .size:           8
        .value_kind:     by_value
      - .address_space:  global
        .offset:         48
        .size:           8
        .value_kind:     global_buffer
      - .offset:         56
        .size:           8
        .value_kind:     by_value
      - .offset:         64
        .size:           8
        .value_kind:     by_value
      - .offset:         72
        .size:           4
        .value_kind:     hidden_block_count_x
      - .offset:         76
        .size:           4
        .value_kind:     hidden_block_count_y
      - .offset:         80
        .size:           4
        .value_kind:     hidden_block_count_z
      - .offset:         84
        .size:           2
        .value_kind:     hidden_group_size_x
      - .offset:         86
        .size:           2
        .value_kind:     hidden_group_size_y
      - .offset:         88
        .size:           2
        .value_kind:     hidden_group_size_z
      - .offset:         90
        .size:           2
        .value_kind:     hidden_remainder_x
      - .offset:         92
        .size:           2
        .value_kind:     hidden_remainder_y
      - .offset:         94
        .size:           2
        .value_kind:     hidden_remainder_z
      - .offset:         112
        .size:           8
        .value_kind:     hidden_global_offset_x
      - .offset:         120
        .size:           8
        .value_kind:     hidden_global_offset_y
      - .offset:         128
        .size:           8
        .value_kind:     hidden_global_offset_z
      - .offset:         136
        .size:           2
        .value_kind:     hidden_grid_dims
      - .offset:         192
        .size:           4
        .value_kind:     hidden_dynamic_lds_size
    .group_segment_fixed_size: 0
    .kernarg_segment_align: 8
    .kernarg_segment_size: 328
    .language:       OpenCL C
    .language_version:
      - 2
      - 0
    .max_flat_workgroup_size: 1024
    .name:           _ZN9rocsolver6v33100L23getf2_npvt_panel_kernelI19rocblas_complex_numIdEllPS3_EEvT0_S5_T2_lS5_lPT1_S5_S5_
    .private_segment_fixed_size: 0
    .sgpr_count:     38
    .sgpr_spill_count: 0
    .symbol:         _ZN9rocsolver6v33100L23getf2_npvt_panel_kernelI19rocblas_complex_numIdEllPS3_EEvT0_S5_T2_lS5_lPT1_S5_S5_.kd
    .uniform_work_group_size: 1
    .uses_dynamic_stack: false
    .vgpr_count:     32
    .vgpr_spill_count: 0
    .wavefront_size: 32
  - .args:
      - .offset:         0
        .size:           8
        .value_kind:     by_value
      - .offset:         8
        .size:           8
        .value_kind:     by_value
      - .address_space:  global
        .offset:         16
        .size:           8
        .value_kind:     global_buffer
      - .offset:         24
        .size:           8
        .value_kind:     by_value
      - .offset:         32
        .size:           8
        .value_kind:     by_value
      - .offset:         40
        .size:           8
        .value_kind:     by_value
      - .address_space:  global
        .offset:         48
        .size:           8
        .value_kind:     global_buffer
      - .offset:         56
        .size:           8
        .value_kind:     by_value
      - .offset:         64
        .size:           8
        .value_kind:     by_value
      - .address_space:  global
        .offset:         72
        .size:           8
        .value_kind:     global_buffer
      - .offset:         80
        .size:           8
        .value_kind:     by_value
      - .offset:         88
        .size:           8
        .value_kind:     by_value
      - .address_space:  global
        .offset:         96
        .size:           8
        .value_kind:     global_buffer
      - .offset:         104
        .size:           8
        .value_kind:     by_value
      - .offset:         112
        .size:           4
        .value_kind:     hidden_block_count_x
      - .offset:         116
        .size:           4
        .value_kind:     hidden_block_count_y
      - .offset:         120
        .size:           4
        .value_kind:     hidden_block_count_z
      - .offset:         124
        .size:           2
        .value_kind:     hidden_group_size_x
      - .offset:         126
        .size:           2
        .value_kind:     hidden_group_size_y
      - .offset:         128
        .size:           2
        .value_kind:     hidden_group_size_z
      - .offset:         130
        .size:           2
        .value_kind:     hidden_remainder_x
      - .offset:         132
        .size:           2
        .value_kind:     hidden_remainder_y
      - .offset:         134
        .size:           2
        .value_kind:     hidden_remainder_z
      - .offset:         152
        .size:           8
        .value_kind:     hidden_global_offset_x
      - .offset:         160
        .size:           8
        .value_kind:     hidden_global_offset_y
      - .offset:         168
        .size:           8
        .value_kind:     hidden_global_offset_z
      - .offset:         176
        .size:           2
        .value_kind:     hidden_grid_dims
      - .offset:         232
        .size:           4
        .value_kind:     hidden_dynamic_lds_size
    .group_segment_fixed_size: 16
    .kernarg_segment_align: 8
    .kernarg_segment_size: 368
    .language:       OpenCL C
    .language_version:
      - 2
      - 0
    .max_flat_workgroup_size: 1024
    .name:           _ZN9rocsolver6v33100L18getf2_panel_kernelI19rocblas_complex_numIdEllPKPS3_EEvT0_S7_T2_lS7_lPS7_llPT1_S7_S7_S9_l
    .private_segment_fixed_size: 0
    .sgpr_count:     52
    .sgpr_spill_count: 0
    .symbol:         _ZN9rocsolver6v33100L18getf2_panel_kernelI19rocblas_complex_numIdEllPKPS3_EEvT0_S7_T2_lS7_lPS7_llPT1_S7_S7_S9_l.kd
    .uniform_work_group_size: 1
    .uses_dynamic_stack: false
    .vgpr_count:     46
    .vgpr_spill_count: 0
    .wavefront_size: 32
  - .args:
      - .offset:         0
        .size:           8
        .value_kind:     by_value
      - .offset:         8
        .size:           8
        .value_kind:     by_value
      - .address_space:  global
        .offset:         16
        .size:           8
        .value_kind:     global_buffer
      - .offset:         24
        .size:           8
        .value_kind:     by_value
      - .offset:         32
        .size:           8
        .value_kind:     by_value
      - .offset:         40
        .size:           8
        .value_kind:     by_value
      - .address_space:  global
        .offset:         48
        .size:           8
        .value_kind:     global_buffer
      - .offset:         56
        .size:           8
        .value_kind:     by_value
      - .offset:         64
        .size:           8
        .value_kind:     by_value
      - .offset:         72
        .size:           4
        .value_kind:     hidden_block_count_x
      - .offset:         76
        .size:           4
        .value_kind:     hidden_block_count_y
      - .offset:         80
        .size:           4
        .value_kind:     hidden_block_count_z
      - .offset:         84
        .size:           2
        .value_kind:     hidden_group_size_x
      - .offset:         86
        .size:           2
        .value_kind:     hidden_group_size_y
      - .offset:         88
        .size:           2
        .value_kind:     hidden_group_size_z
      - .offset:         90
        .size:           2
        .value_kind:     hidden_remainder_x
      - .offset:         92
        .size:           2
        .value_kind:     hidden_remainder_y
      - .offset:         94
        .size:           2
        .value_kind:     hidden_remainder_z
      - .offset:         112
        .size:           8
        .value_kind:     hidden_global_offset_x
      - .offset:         120
        .size:           8
        .value_kind:     hidden_global_offset_y
      - .offset:         128
        .size:           8
        .value_kind:     hidden_global_offset_z
      - .offset:         136
        .size:           2
        .value_kind:     hidden_grid_dims
      - .offset:         192
        .size:           4
        .value_kind:     hidden_dynamic_lds_size
    .group_segment_fixed_size: 0
    .kernarg_segment_align: 8
    .kernarg_segment_size: 328
    .language:       OpenCL C
    .language_version:
      - 2
      - 0
    .max_flat_workgroup_size: 1024
    .name:           _ZN9rocsolver6v33100L23getf2_npvt_panel_kernelI19rocblas_complex_numIdEllPKPS3_EEvT0_S7_T2_lS7_lPT1_S7_S7_
    .private_segment_fixed_size: 0
    .sgpr_count:     34
    .sgpr_spill_count: 0
    .symbol:         _ZN9rocsolver6v33100L23getf2_npvt_panel_kernelI19rocblas_complex_numIdEllPKPS3_EEvT0_S7_T2_lS7_lPT1_S7_S7_.kd
    .uniform_work_group_size: 1
    .uses_dynamic_stack: false
    .vgpr_count:     32
    .vgpr_spill_count: 0
    .wavefront_size: 32
  - .args:
      - .offset:         0
        .size:           8
        .value_kind:     by_value
      - .offset:         8
        .size:           8
        .value_kind:     by_value
      - .address_space:  global
        .offset:         16
        .size:           8
        .value_kind:     global_buffer
      - .address_space:  global
        .offset:         24
        .size:           8
        .value_kind:     global_buffer
      - .offset:         32
        .size:           8
        .value_kind:     by_value
      - .offset:         40
        .size:           8
        .value_kind:     by_value
      - .offset:         48
        .size:           8
        .value_kind:     by_value
      - .offset:         56
        .size:           4
        .value_kind:     hidden_block_count_x
      - .offset:         60
        .size:           4
        .value_kind:     hidden_block_count_y
      - .offset:         64
        .size:           4
        .value_kind:     hidden_block_count_z
      - .offset:         68
        .size:           2
        .value_kind:     hidden_group_size_x
      - .offset:         70
        .size:           2
        .value_kind:     hidden_group_size_y
      - .offset:         72
        .size:           2
        .value_kind:     hidden_group_size_z
      - .offset:         74
        .size:           2
        .value_kind:     hidden_remainder_x
      - .offset:         76
        .size:           2
        .value_kind:     hidden_remainder_y
      - .offset:         78
        .size:           2
        .value_kind:     hidden_remainder_z
      - .offset:         96
        .size:           8
        .value_kind:     hidden_global_offset_x
      - .offset:         104
        .size:           8
        .value_kind:     hidden_global_offset_y
      - .offset:         112
        .size:           8
        .value_kind:     hidden_global_offset_z
      - .offset:         120
        .size:           2
        .value_kind:     hidden_grid_dims
      - .offset:         176
        .size:           4
        .value_kind:     hidden_dynamic_lds_size
    .group_segment_fixed_size: 0
    .kernarg_segment_align: 8
    .kernarg_segment_size: 312
    .language:       OpenCL C
    .language_version:
      - 2
      - 0
    .max_flat_workgroup_size: 1024
    .name:           _ZN9rocsolver6v33100L25getf2_scale_update_kernelI19rocblas_complex_numIdElPS3_EEvT0_S5_PT_T1_lS5_l
    .private_segment_fixed_size: 0
    .sgpr_count:     26
    .sgpr_spill_count: 0
    .symbol:         _ZN9rocsolver6v33100L25getf2_scale_update_kernelI19rocblas_complex_numIdElPS3_EEvT0_S5_PT_T1_lS5_l.kd
    .uniform_work_group_size: 1
    .uses_dynamic_stack: false
    .vgpr_count:     22
    .vgpr_spill_count: 0
    .wavefront_size: 32
  - .args:
      - .offset:         0
        .size:           8
        .value_kind:     by_value
      - .offset:         8
        .size:           8
        .value_kind:     by_value
      - .address_space:  global
        .offset:         16
        .size:           8
        .value_kind:     global_buffer
      - .address_space:  global
        .offset:         24
        .size:           8
        .value_kind:     global_buffer
      - .offset:         32
        .size:           8
        .value_kind:     by_value
      - .offset:         40
        .size:           8
        .value_kind:     by_value
      - .offset:         48
        .size:           8
        .value_kind:     by_value
      - .offset:         56
        .size:           4
        .value_kind:     hidden_block_count_x
      - .offset:         60
        .size:           4
        .value_kind:     hidden_block_count_y
      - .offset:         64
        .size:           4
        .value_kind:     hidden_block_count_z
      - .offset:         68
        .size:           2
        .value_kind:     hidden_group_size_x
      - .offset:         70
        .size:           2
        .value_kind:     hidden_group_size_y
      - .offset:         72
        .size:           2
        .value_kind:     hidden_group_size_z
      - .offset:         74
        .size:           2
        .value_kind:     hidden_remainder_x
      - .offset:         76
        .size:           2
        .value_kind:     hidden_remainder_y
      - .offset:         78
        .size:           2
        .value_kind:     hidden_remainder_z
      - .offset:         96
        .size:           8
        .value_kind:     hidden_global_offset_x
      - .offset:         104
        .size:           8
        .value_kind:     hidden_global_offset_y
      - .offset:         112
        .size:           8
        .value_kind:     hidden_global_offset_z
      - .offset:         120
        .size:           2
        .value_kind:     hidden_grid_dims
      - .offset:         176
        .size:           4
        .value_kind:     hidden_dynamic_lds_size
    .group_segment_fixed_size: 0
    .kernarg_segment_align: 8
    .kernarg_segment_size: 312
    .language:       OpenCL C
    .language_version:
      - 2
      - 0
    .max_flat_workgroup_size: 1024
    .name:           _ZN9rocsolver6v33100L25getf2_scale_update_kernelI19rocblas_complex_numIdElPKPS3_EEvT0_S7_PT_T1_lS7_l
    .private_segment_fixed_size: 0
    .sgpr_count:     26
    .sgpr_spill_count: 0
    .symbol:         _ZN9rocsolver6v33100L25getf2_scale_update_kernelI19rocblas_complex_numIdElPKPS3_EEvT0_S7_PT_T1_lS7_l.kd
    .uniform_work_group_size: 1
    .uses_dynamic_stack: false
    .vgpr_count:     20
    .vgpr_spill_count: 0
    .wavefront_size: 32
amdhsa.target:   amdgcn-amd-amdhsa--gfx1250
amdhsa.version:
  - 1
  - 2
...

	.end_amdgpu_metadata
